;; amdgpu-corpus repo=ROCm/rocFFT kind=compiled arch=gfx906 opt=O3
	.text
	.amdgcn_target "amdgcn-amd-amdhsa--gfx906"
	.amdhsa_code_object_version 6
	.protected	bluestein_single_back_len1485_dim1_sp_op_CI_CI ; -- Begin function bluestein_single_back_len1485_dim1_sp_op_CI_CI
	.globl	bluestein_single_back_len1485_dim1_sp_op_CI_CI
	.p2align	8
	.type	bluestein_single_back_len1485_dim1_sp_op_CI_CI,@function
bluestein_single_back_len1485_dim1_sp_op_CI_CI: ; @bluestein_single_back_len1485_dim1_sp_op_CI_CI
; %bb.0:
	s_load_dwordx4 s[16:19], s[4:5], 0x28
	v_mul_u32_u24_e32 v1, 0x18e, v0
	v_add_u32_sdwa v74, s6, v1 dst_sel:DWORD dst_unused:UNUSED_PAD src0_sel:DWORD src1_sel:WORD_1
	v_mov_b32_e32 v75, 0
	s_waitcnt lgkmcnt(0)
	v_cmp_gt_u64_e32 vcc, s[16:17], v[74:75]
	s_and_saveexec_b64 s[0:1], vcc
	s_cbranch_execz .LBB0_18
; %bb.1:
	s_load_dwordx4 s[0:3], s[4:5], 0x18
	s_load_dwordx4 s[12:15], s[4:5], 0x0
	v_mov_b32_e32 v18, 0xffffe638
                                        ; implicit-def: $vgpr30
	s_waitcnt lgkmcnt(0)
	s_load_dwordx4 s[8:11], s[0:1], 0x0
	s_movk_i32 s0, 0xa5
	v_mul_lo_u16_sdwa v1, v1, s0 dst_sel:DWORD dst_unused:UNUSED_PAD src0_sel:WORD_1 src1_sel:DWORD
	v_sub_u16_e32 v98, v0, v1
	v_lshlrev_b32_e32 v97, 3, v98
	s_waitcnt lgkmcnt(0)
	v_mad_u64_u32 v[0:1], s[6:7], s10, v74, 0
	v_mad_u64_u32 v[2:3], s[6:7], s8, v98, 0
	s_mul_i32 s1, s9, 0xf78
	s_mul_i32 s10, s8, 0xf78
	v_mad_u64_u32 v[4:5], s[6:7], s11, v74, v[1:2]
	global_load_dwordx2 v[79:80], v97, s[12:13] offset:3960
	s_movk_i32 s11, 0x2000
	v_mad_u64_u32 v[5:6], s[6:7], s9, v98, v[3:4]
	v_mov_b32_e32 v1, v4
	v_lshlrev_b64 v[0:1], 3, v[0:1]
	v_mov_b32_e32 v6, s19
	v_mov_b32_e32 v3, v5
	v_add_co_u32_e32 v4, vcc, s18, v0
	v_addc_co_u32_e32 v5, vcc, v6, v1, vcc
	v_lshlrev_b64 v[0:1], 3, v[2:3]
	v_mov_b32_e32 v2, s13
	v_add_co_u32_e32 v0, vcc, v4, v0
	v_addc_co_u32_e32 v1, vcc, v5, v1, vcc
	v_add_co_u32_e32 v16, vcc, s12, v97
	s_mul_hi_u32 s6, s8, 0xf78
	v_addc_co_u32_e32 v17, vcc, 0, v2, vcc
	s_add_i32 s1, s6, s1
	v_mov_b32_e32 v3, s1
	v_add_co_u32_e32 v2, vcc, s10, v0
	v_addc_co_u32_e32 v3, vcc, v1, v3, vcc
	v_mov_b32_e32 v5, s1
	v_add_co_u32_e32 v4, vcc, s10, v2
	v_addc_co_u32_e32 v5, vcc, v3, v5, vcc
	s_movk_i32 s6, 0x1000
	global_load_dwordx2 v[6:7], v[0:1], off
	global_load_dwordx2 v[8:9], v[2:3], off
	;; [unrolled: 1-line block ×3, first 2 shown]
	v_add_co_u32_e32 v0, vcc, s6, v16
	v_mad_u64_u32 v[2:3], s[6:7], s8, v18, v[4:5]
	s_mul_i32 s6, s9, 0xffffe638
	s_sub_i32 s9, s6, s8
	v_addc_co_u32_e32 v1, vcc, 0, v17, vcc
	v_add_u32_e32 v3, s9, v3
	global_load_dwordx2 v[77:78], v[0:1], off offset:3824
	global_load_dwordx2 v[81:82], v97, s[12:13]
	global_load_dwordx2 v[4:5], v[2:3], off
	global_load_dwordx2 v[75:76], v97, s[12:13] offset:1320
	v_mov_b32_e32 v12, s1
	v_add_co_u32_e32 v2, vcc, s10, v2
	v_addc_co_u32_e32 v3, vcc, v3, v12, vcc
	global_load_dwordx2 v[12:13], v[2:3], off
	global_load_dwordx2 v[70:71], v[0:1], off offset:1184
	v_mov_b32_e32 v14, s1
	v_add_co_u32_e32 v2, vcc, s10, v2
	v_addc_co_u32_e32 v3, vcc, v3, v14, vcc
	global_load_dwordx2 v[14:15], v[2:3], off
	v_mad_u64_u32 v[2:3], s[6:7], s8, v18, v[2:3]
	v_add_co_u32_e32 v16, vcc, s11, v16
	v_addc_co_u32_e32 v17, vcc, 0, v17, vcc
	v_add_u32_e32 v3, s9, v3
	global_load_dwordx2 v[72:73], v[16:17], off offset:1048
	global_load_dwordx2 v[18:19], v[2:3], off
	global_load_dwordx2 v[68:69], v97, s[12:13] offset:2640
	v_mov_b32_e32 v20, s1
	v_add_co_u32_e32 v2, vcc, s10, v2
	v_addc_co_u32_e32 v3, vcc, v3, v20, vcc
	global_load_dwordx2 v[20:21], v[2:3], off
	global_load_dwordx2 v[66:67], v[0:1], off offset:2504
	v_mov_b32_e32 v1, s1
	v_add_co_u32_e32 v0, vcc, s10, v2
	v_addc_co_u32_e32 v1, vcc, v3, v1, vcc
	global_load_dwordx2 v[2:3], v[0:1], off
	global_load_dwordx2 v[64:65], v[16:17], off offset:2368
	s_load_dwordx2 s[6:7], s[4:5], 0x38
	s_load_dwordx4 s[8:11], s[2:3], 0x0
	v_add_co_u32_e32 v60, vcc, s0, v98
	s_movk_i32 s0, 0x14a
	v_add_co_u32_e32 v61, vcc, s0, v98
	s_movk_i32 s0, 0x84
	v_cmp_gt_u16_e32 vcc, s0, v98
	s_waitcnt vmcnt(12)
	v_mul_f32_e32 v0, v7, v82
	v_mul_f32_e32 v1, v6, v82
	v_fmac_f32_e32 v0, v6, v81
	v_fma_f32 v1, v7, v81, -v1
	v_mul_f32_e32 v6, v9, v80
	v_mul_f32_e32 v7, v8, v80
	v_fmac_f32_e32 v6, v8, v79
	v_fma_f32 v7, v9, v79, -v7
	ds_write_b64 v97, v[6:7] offset:3960
	v_mul_f32_e32 v6, v11, v78
	v_mul_f32_e32 v7, v10, v78
	v_fmac_f32_e32 v6, v10, v77
	v_fma_f32 v7, v11, v77, -v7
	ds_write_b64 v97, v[6:7] offset:7920
	s_waitcnt vmcnt(10)
	v_mul_f32_e32 v6, v5, v76
	v_fmac_f32_e32 v6, v4, v75
	v_mul_f32_e32 v4, v4, v76
	v_fma_f32 v7, v5, v75, -v4
	ds_write2_b64 v97, v[0:1], v[6:7] offset1:165
	s_waitcnt vmcnt(8)
	v_mul_f32_e32 v0, v13, v71
	v_mul_f32_e32 v1, v12, v71
	v_fmac_f32_e32 v0, v12, v70
	s_waitcnt vmcnt(4)
	v_mul_f32_e32 v6, v19, v69
	v_mul_f32_e32 v7, v18, v69
	v_fmac_f32_e32 v6, v18, v68
	v_fma_f32 v7, v19, v68, -v7
	ds_write_b64 v97, v[6:7] offset:2640
	v_fma_f32 v1, v13, v70, -v1
	s_waitcnt vmcnt(2)
	v_mul_f32_e32 v6, v21, v67
	v_mul_f32_e32 v7, v20, v67
	v_fmac_f32_e32 v6, v20, v66
	v_fma_f32 v7, v21, v66, -v7
	v_add_u32_e32 v8, 0x1400, v97
	v_mul_f32_e32 v4, v15, v73
	v_mul_f32_e32 v5, v14, v73
	ds_write2_b64 v8, v[0:1], v[6:7] offset0:20 offset1:185
	s_waitcnt vmcnt(0)
	v_mul_f32_e32 v0, v3, v65
	v_mul_f32_e32 v1, v2, v65
	v_fmac_f32_e32 v4, v14, v72
	v_fma_f32 v5, v15, v72, -v5
	v_fmac_f32_e32 v0, v2, v64
	v_fma_f32 v1, v3, v64, -v1
	v_add_u32_e32 v2, 0x2400, v97
	ds_write2_b64 v2, v[4:5], v[0:1] offset0:3 offset1:168
	v_add_u32_e32 v0, 0x800, v97
	s_waitcnt lgkmcnt(0)
	s_barrier
	ds_read2_b64 v[16:19], v0 offset0:74 offset1:239
	v_add_u32_e32 v0, 0x1e00, v97
	ds_read2_b64 v[0:3], v0 offset0:30 offset1:195
	ds_read2_b64 v[38:41], v97 offset1:165
	ds_read2_b64 v[4:7], v8 offset0:20 offset1:185
	ds_read_b64 v[8:9], v97 offset:10560
	s_waitcnt lgkmcnt(0)
	s_barrier
	v_add_f32_e32 v11, v18, v0
	v_fma_f32 v12, -0.5, v11, v38
	v_sub_f32_e32 v11, v19, v1
	v_mov_b32_e32 v14, v12
	v_fmac_f32_e32 v14, 0x3f5db3d7, v11
	v_fmac_f32_e32 v12, 0xbf5db3d7, v11
	v_add_f32_e32 v11, v39, v19
	v_add_f32_e32 v11, v11, v1
	;; [unrolled: 1-line block ×4, first 2 shown]
	v_fma_f32 v13, -0.5, v1, v39
	v_add_f32_e32 v10, v10, v0
	v_sub_f32_e32 v0, v18, v0
	v_mov_b32_e32 v15, v13
	v_add_f32_e32 v1, v4, v2
	v_fmac_f32_e32 v15, 0xbf5db3d7, v0
	v_fmac_f32_e32 v13, 0x3f5db3d7, v0
	v_add_f32_e32 v0, v40, v4
	v_fma_f32 v40, -0.5, v1, v40
	v_sub_f32_e32 v1, v5, v3
	v_mov_b32_e32 v22, v40
	v_fmac_f32_e32 v22, 0x3f5db3d7, v1
	v_fmac_f32_e32 v40, 0xbf5db3d7, v1
	v_add_f32_e32 v1, v41, v5
	v_add_f32_e32 v1, v1, v3
	;; [unrolled: 1-line block ×3, first 2 shown]
	v_fmac_f32_e32 v41, -0.5, v3
	v_add_f32_e32 v0, v0, v2
	v_sub_f32_e32 v2, v4, v2
	v_mov_b32_e32 v23, v41
	v_fmac_f32_e32 v23, 0xbf5db3d7, v2
	v_fmac_f32_e32 v41, 0x3f5db3d7, v2
	v_add_f32_e32 v2, v16, v6
	v_add_f32_e32 v18, v2, v8
	;; [unrolled: 1-line block ×3, first 2 shown]
	v_fma_f32 v16, -0.5, v2, v16
	v_sub_f32_e32 v2, v7, v9
	v_mov_b32_e32 v20, v16
	v_fmac_f32_e32 v20, 0x3f5db3d7, v2
	v_fmac_f32_e32 v16, 0xbf5db3d7, v2
	v_add_f32_e32 v2, v17, v7
	v_add_f32_e32 v19, v2, v9
	;; [unrolled: 1-line block ×3, first 2 shown]
	v_fmac_f32_e32 v17, -0.5, v2
	v_sub_f32_e32 v2, v6, v8
	v_mov_b32_e32 v21, v17
	v_fmac_f32_e32 v21, 0xbf5db3d7, v2
	v_fmac_f32_e32 v17, 0x3f5db3d7, v2
	v_mul_lo_u16_e32 v2, 3, v98
	v_lshlrev_b32_e32 v89, 3, v2
	v_mul_u32_u24_e32 v2, 3, v60
	v_lshlrev_b32_e32 v90, 3, v2
	ds_write2_b64 v89, v[10:11], v[14:15] offset1:1
	ds_write_b64 v89, v[12:13] offset:16
	ds_write2_b64 v90, v[0:1], v[22:23] offset1:1
	ds_write_b64 v90, v[40:41] offset:16
	v_mul_u32_u24_e32 v0, 3, v61
	v_lshlrev_b32_e32 v91, 3, v0
	ds_write2_b64 v91, v[18:19], v[20:21] offset1:1
	ds_write_b64 v91, v[16:17] offset:16
	s_waitcnt lgkmcnt(0)
	s_barrier
	ds_read_b64 v[44:45], v97
	ds_read_b64 v[28:29], v97 offset:2376
	ds_read_b64 v[26:27], v97 offset:4752
	;; [unrolled: 1-line block ×4, first 2 shown]
	s_and_saveexec_b64 s[0:1], vcc
	s_cbranch_execz .LBB0_3
; %bb.2:
	ds_read_b64 v[40:41], v97 offset:1320
	ds_read_b64 v[18:19], v97 offset:3696
	;; [unrolled: 1-line block ×5, first 2 shown]
.LBB0_3:
	s_or_b64 exec, exec, s[0:1]
	s_movk_i32 s0, 0xab
	v_mul_lo_u16_sdwa v0, v98, s0 dst_sel:DWORD dst_unused:UNUSED_PAD src0_sel:BYTE_0 src1_sel:DWORD
	v_lshrrev_b16_e32 v32, 9, v0
	v_mul_lo_u16_e32 v0, 3, v32
	v_sub_u16_e32 v0, v98, v0
	v_and_b32_e32 v33, 0xff, v0
	v_lshlrev_b32_e32 v8, 5, v33
	s_mov_b32 s0, 0xaaab
	global_load_dwordx4 v[0:3], v8, s[14:15] offset:16
	global_load_dwordx4 v[4:7], v8, s[14:15]
	v_mul_u32_u24_sdwa v8, v60, s0 dst_sel:DWORD dst_unused:UNUSED_PAD src0_sel:WORD_0 src1_sel:DWORD
	v_lshrrev_b32_e32 v34, 17, v8
	v_mul_lo_u16_e32 v8, 3, v34
	v_sub_u16_e32 v35, v60, v8
	v_lshlrev_b16_e32 v8, 2, v35
	v_lshlrev_b32_e32 v36, 3, v8
	global_load_dwordx4 v[12:15], v36, s[14:15]
	global_load_dwordx4 v[8:11], v36, s[14:15] offset:16
	v_mad_legacy_u16 v102, v34, 15, v35
	s_waitcnt vmcnt(0) lgkmcnt(0)
	s_barrier
	v_mul_f32_e32 v38, v25, v1
	v_mul_f32_e32 v36, v29, v5
	;; [unrolled: 1-line block ×5, first 2 shown]
	v_fma_f32 v28, v28, v4, -v36
	v_mul_f32_e32 v49, v26, v7
	v_mul_f32_e32 v58, v18, v13
	;; [unrolled: 1-line block ×9, first 2 shown]
	v_fma_f32 v26, v26, v6, -v37
	v_fma_f32 v24, v24, v0, -v38
	;; [unrolled: 1-line block ×3, first 2 shown]
	v_fmac_f32_e32 v58, v19, v12
	v_fma_f32 v19, v20, v14, -v43
	v_add_f32_e32 v20, v44, v28
	v_mul_f32_e32 v46, v17, v9
	v_mul_f32_e32 v63, v30, v11
	v_fmac_f32_e32 v48, v29, v4
	v_fmac_f32_e32 v49, v27, v6
	v_fmac_f32_e32 v50, v25, v0
	v_fmac_f32_e32 v51, v23, v2
	v_fmac_f32_e32 v59, v21, v14
	v_fmac_f32_e32 v62, v17, v8
	v_fma_f32 v17, v30, v10, -v47
	v_add_f32_e32 v21, v26, v24
	v_add_f32_e32 v30, v28, v22
	;; [unrolled: 1-line block ×3, first 2 shown]
	v_fma_f32 v18, v18, v12, -v42
	v_fma_f32 v16, v16, v8, -v46
	v_fmac_f32_e32 v63, v31, v10
	v_sub_f32_e32 v27, v28, v26
	v_sub_f32_e32 v29, v22, v24
	;; [unrolled: 1-line block ×6, first 2 shown]
	v_fma_f32 v46, -0.5, v21, v44
	v_fma_f32 v44, -0.5, v30, v44
	v_add_f32_e32 v20, v20, v24
	v_sub_f32_e32 v25, v49, v50
	v_add_f32_e32 v38, v49, v50
	v_sub_f32_e32 v52, v26, v24
	v_add_f32_e32 v26, v27, v29
	v_add_f32_e32 v21, v31, v36
	;; [unrolled: 1-line block ×3, first 2 shown]
	v_mov_b32_e32 v42, v44
	v_add_f32_e32 v36, v20, v22
	v_add_f32_e32 v20, v48, v51
	v_sub_f32_e32 v23, v48, v51
	v_add_f32_e32 v37, v45, v48
	v_fma_f32 v47, -0.5, v38, v45
	v_fmac_f32_e32 v44, 0x3f737871, v25
	v_fmac_f32_e32 v42, 0xbf737871, v25
	v_fmac_f32_e32 v45, -0.5, v20
	v_fmac_f32_e32 v44, 0xbf167918, v23
	v_fmac_f32_e32 v42, 0x3f167918, v23
	v_mov_b32_e32 v43, v45
	v_sub_f32_e32 v28, v28, v22
	v_fmac_f32_e32 v44, 0x3e9e377a, v21
	v_fmac_f32_e32 v42, 0x3e9e377a, v21
	;; [unrolled: 1-line block ×3, first 2 shown]
	v_sub_f32_e32 v20, v49, v48
	v_sub_f32_e32 v21, v50, v51
	v_fmac_f32_e32 v45, 0xbf737871, v52
	v_fmac_f32_e32 v43, 0xbf167918, v28
	v_add_f32_e32 v20, v20, v21
	v_fmac_f32_e32 v45, 0x3f167918, v28
	v_fmac_f32_e32 v43, 0x3e9e377a, v20
	;; [unrolled: 1-line block ×3, first 2 shown]
	v_add_f32_e32 v20, v40, v18
	v_add_f32_e32 v20, v20, v19
	v_mov_b32_e32 v39, v47
	v_add_f32_e32 v20, v20, v16
	v_fmac_f32_e32 v39, 0xbf737871, v28
	v_fmac_f32_e32 v47, 0x3f737871, v28
	v_add_f32_e32 v48, v20, v17
	v_add_f32_e32 v20, v19, v16
	v_fmac_f32_e32 v39, 0xbf167918, v52
	v_fmac_f32_e32 v47, 0x3f167918, v52
	v_fma_f32 v52, -0.5, v20, v40
	v_mov_b32_e32 v38, v46
	v_sub_f32_e32 v20, v58, v63
	v_mov_b32_e32 v54, v52
	v_fmac_f32_e32 v46, 0xbf737871, v23
	v_fmac_f32_e32 v38, 0x3f737871, v23
	;; [unrolled: 1-line block ×3, first 2 shown]
	v_sub_f32_e32 v21, v59, v62
	v_sub_f32_e32 v22, v18, v19
	;; [unrolled: 1-line block ×3, first 2 shown]
	v_fmac_f32_e32 v52, 0xbf737871, v20
	v_fmac_f32_e32 v54, 0x3f167918, v21
	v_add_f32_e32 v22, v22, v23
	v_fmac_f32_e32 v52, 0xbf167918, v21
	v_fmac_f32_e32 v54, 0x3e9e377a, v22
	;; [unrolled: 1-line block ×3, first 2 shown]
	v_add_f32_e32 v22, v18, v17
	v_fmac_f32_e32 v40, -0.5, v22
	v_mov_b32_e32 v56, v40
	v_fmac_f32_e32 v56, 0xbf737871, v21
	v_fmac_f32_e32 v40, 0x3f737871, v21
	;; [unrolled: 1-line block ×4, first 2 shown]
	v_add_f32_e32 v20, v41, v58
	v_add_f32_e32 v20, v20, v59
	;; [unrolled: 1-line block ×6, first 2 shown]
	v_fma_f32 v53, -0.5, v20, v41
	v_sub_f32_e32 v23, v16, v17
	v_sub_f32_e32 v17, v18, v17
	v_mov_b32_e32 v55, v53
	v_sub_f32_e32 v22, v19, v18
	v_fmac_f32_e32 v55, 0xbf737871, v17
	v_sub_f32_e32 v16, v19, v16
	v_sub_f32_e32 v18, v58, v59
	;; [unrolled: 1-line block ×3, first 2 shown]
	v_fmac_f32_e32 v53, 0x3f737871, v17
	v_fmac_f32_e32 v55, 0xbf167918, v16
	v_add_f32_e32 v18, v18, v19
	v_fmac_f32_e32 v53, 0x3f167918, v16
	v_fmac_f32_e32 v55, 0x3e9e377a, v18
	;; [unrolled: 1-line block ×3, first 2 shown]
	v_add_f32_e32 v18, v58, v63
	v_fmac_f32_e32 v41, -0.5, v18
	v_mov_b32_e32 v57, v41
	v_fmac_f32_e32 v57, 0x3f737871, v16
	v_sub_f32_e32 v18, v59, v58
	v_sub_f32_e32 v19, v62, v63
	v_fmac_f32_e32 v41, 0xbf737871, v16
	v_add_f32_e32 v24, v27, v50
	v_fmac_f32_e32 v46, 0xbf167918, v25
	v_fmac_f32_e32 v38, 0x3f167918, v25
	v_add_f32_e32 v22, v22, v23
	v_fmac_f32_e32 v57, 0xbf167918, v17
	v_add_f32_e32 v18, v18, v19
	v_fmac_f32_e32 v41, 0x3f167918, v17
	v_mul_u32_u24_e32 v16, 15, v32
	v_add_f32_e32 v37, v24, v51
	v_fmac_f32_e32 v46, 0x3e9e377a, v26
	v_fmac_f32_e32 v38, 0x3e9e377a, v26
	;; [unrolled: 1-line block ×8, first 2 shown]
	v_add_lshl_u32 v101, v16, v33, 3
	ds_write2_b64 v101, v[36:37], v[38:39] offset1:3
	ds_write2_b64 v101, v[42:43], v[44:45] offset0:6 offset1:9
	ds_write_b64 v101, v[46:47] offset:96
	s_and_saveexec_b64 s[0:1], vcc
	s_cbranch_execz .LBB0_5
; %bb.4:
	v_lshlrev_b32_e32 v16, 3, v102
	ds_write2_b64 v16, v[48:49], v[54:55] offset1:3
	ds_write2_b64 v16, v[56:57], v[40:41] offset0:6 offset1:9
	ds_write_b64 v16, v[52:53] offset:96
.LBB0_5:
	s_or_b64 exec, exec, s[0:1]
	s_movk_i32 s0, 0x87
	v_cmp_gt_u16_e64 s[0:1], s0, v98
	s_waitcnt lgkmcnt(0)
	s_barrier
	s_waitcnt lgkmcnt(0)
                                        ; implicit-def: $vgpr58
	s_and_saveexec_b64 s[2:3], s[0:1]
	s_cbranch_execz .LBB0_7
; %bb.6:
	v_add_u32_e32 v16, 0x800, v97
	ds_read2_b64 v[42:45], v16 offset0:14 offset1:149
	v_add_u32_e32 v16, 0x1000, v97
	ds_read2_b64 v[36:39], v97 offset1:135
	ds_read2_b64 v[46:49], v16 offset0:28 offset1:163
	v_add_u32_e32 v17, 0x2000, v97
	v_add_u32_e32 v16, 0x1800, v97
	ds_read2_b64 v[50:53], v17 offset0:56 offset1:191
	ds_read2_b64 v[54:57], v16 offset0:42 offset1:177
	ds_read_b64 v[58:59], v97 offset:10800
	s_waitcnt lgkmcnt(2)
	v_mov_b32_e32 v40, v50
	v_mov_b32_e32 v41, v51
.LBB0_7:
	s_or_b64 exec, exec, s[2:3]
	s_movk_i32 s2, 0x89
	v_mul_lo_u16_sdwa v16, v98, s2 dst_sel:DWORD dst_unused:UNUSED_PAD src0_sel:BYTE_0 src1_sel:DWORD
	v_lshrrev_b16_e32 v99, 11, v16
	v_mul_lo_u16_e32 v16, 15, v99
	v_sub_u16_e32 v16, v98, v16
	v_and_b32_e32 v100, 0xff, v16
	v_mov_b32_e32 v17, s15
	s_movk_i32 s2, 0x50
	v_mov_b32_e32 v16, s14
	v_mad_u64_u32 v[50:51], s[2:3], v100, s2, v[16:17]
	global_load_dwordx4 v[28:31], v[50:51], off offset:96
	global_load_dwordx4 v[24:27], v[50:51], off offset:112
	;; [unrolled: 1-line block ×5, first 2 shown]
	s_mov_b32 s4, 0x3f575c64
	s_mov_b32 s5, 0x3ed4b147
	;; [unrolled: 1-line block ×5, first 2 shown]
	s_waitcnt vmcnt(0) lgkmcnt(0)
	s_barrier
	v_mul_f32_e32 v50, v38, v29
	v_mul_f32_e32 v51, v42, v31
	v_fmac_f32_e32 v50, v39, v28
	v_mul_f32_e32 v83, v39, v29
	v_mul_f32_e32 v96, v58, v35
	;; [unrolled: 1-line block ×4, first 2 shown]
	v_fmac_f32_e32 v96, v59, v34
	v_mul_f32_e32 v62, v44, v25
	v_mul_f32_e32 v87, v48, v17
	;; [unrolled: 1-line block ×5, first 2 shown]
	v_fmac_f32_e32 v51, v43, v30
	v_fma_f32 v52, v52, v32, -v110
	v_fmac_f32_e32 v94, v53, v32
	v_sub_f32_e32 v110, v50, v96
	v_mul_f32_e32 v84, v43, v31
	v_mul_f32_e32 v86, v47, v27
	;; [unrolled: 1-line block ×5, first 2 shown]
	v_fma_f32 v95, v38, v28, -v83
	v_fmac_f32_e32 v62, v45, v24
	v_fmac_f32_e32 v87, v49, v16
	v_fma_f32 v49, v56, v20, -v108
	v_fmac_f32_e32 v93, v41, v22
	v_fma_f32 v53, v58, v34, -v111
	v_sub_f32_e32 v111, v51, v94
	v_mul_f32_e32 v56, 0xbf0a6770, v110
	v_mul_f32_e32 v85, v45, v25
	;; [unrolled: 1-line block ×4, first 2 shown]
	v_fma_f32 v103, v42, v30, -v84
	v_fma_f32 v105, v46, v26, -v86
	v_fmac_f32_e32 v63, v47, v26
	v_fmac_f32_e32 v92, v57, v20
	v_add_f32_e32 v38, v95, v53
	v_sub_f32_e32 v116, v95, v53
	v_sub_f32_e32 v112, v62, v93
	v_mul_f32_e32 v57, 0xbf68dda4, v111
	v_mov_b32_e32 v46, v56
	v_mul_f32_e32 v88, v54, v19
	v_fma_f32 v104, v44, v24, -v85
	v_fma_f32 v47, v48, v16, -v106
	;; [unrolled: 1-line block ×4, first 2 shown]
	v_add_f32_e32 v42, v50, v96
	v_add_f32_e32 v39, v103, v52
	v_sub_f32_e32 v117, v103, v52
	v_sub_f32_e32 v114, v63, v92
	v_mul_f32_e32 v106, 0xbf0a6770, v116
	v_mul_f32_e32 v58, 0xbf7d64f0, v112
	v_mov_b32_e32 v83, v57
	v_fmac_f32_e32 v46, 0x3f575c64, v38
	v_fmac_f32_e32 v88, v55, v18
	v_add_f32_e32 v43, v51, v94
	v_add_f32_e32 v40, v104, v54
	v_sub_f32_e32 v118, v104, v54
	v_mul_f32_e32 v107, 0xbf68dda4, v117
	v_mul_f32_e32 v59, 0xbf4178ce, v114
	v_fma_f32 v55, v42, s4, -v106
	v_mov_b32_e32 v85, v58
	v_fmac_f32_e32 v83, 0x3ed4b147, v39
	v_add_f32_e32 v46, v36, v46
	v_add_f32_e32 v44, v62, v93
	;; [unrolled: 1-line block ×3, first 2 shown]
	v_sub_f32_e32 v119, v105, v49
	v_mul_f32_e32 v108, 0xbf7d64f0, v118
	v_fma_f32 v84, v43, s5, -v107
	v_add_f32_e32 v55, v37, v55
	v_fmac_f32_e32 v85, 0xbe11bafb, v40
	v_add_f32_e32 v46, v83, v46
	v_mov_b32_e32 v83, v59
	v_add_f32_e32 v45, v63, v92
	v_mul_f32_e32 v109, 0xbf4178ce, v119
	v_fma_f32 v86, v44, s17, -v108
	v_add_f32_e32 v55, v84, v55
	v_add_f32_e32 v46, v85, v46
	v_fmac_f32_e32 v83, 0xbf27a4f4, v41
	v_sub_f32_e32 v122, v87, v88
	v_add_f32_e32 v55, v86, v55
	v_add_f32_e32 v83, v83, v46
	v_fma_f32 v46, v45, s16, -v109
	v_mul_f32_e32 v113, 0xbe903f40, v122
	v_add_f32_e32 v84, v46, v55
	v_add_f32_e32 v46, v47, v48
	v_sub_f32_e32 v127, v47, v48
	v_mov_b32_e32 v85, v113
	v_add_f32_e32 v55, v87, v88
	v_mul_f32_e32 v115, 0xbe903f40, v127
	v_fmac_f32_e32 v85, 0xbf75a155, v46
	v_add_f32_e32 v83, v85, v83
	v_fma_f32 v85, v55, s18, -v115
	v_mul_f32_e32 v120, 0xbf68dda4, v110
	v_add_f32_e32 v84, v85, v84
	v_mov_b32_e32 v85, v120
	v_mul_f32_e32 v121, 0xbf4178ce, v111
	v_fmac_f32_e32 v85, 0x3ed4b147, v38
	v_mov_b32_e32 v86, v121
	v_add_f32_e32 v85, v36, v85
	v_fmac_f32_e32 v86, 0xbf27a4f4, v39
	v_mul_f32_e32 v125, 0xbf68dda4, v116
	v_add_f32_e32 v85, v86, v85
	v_fma_f32 v86, v42, s5, -v125
	v_mul_f32_e32 v126, 0xbf4178ce, v117
	v_add_f32_e32 v86, v37, v86
	v_fma_f32 v123, v43, s16, -v126
	v_add_f32_e32 v86, v123, v86
	v_mul_f32_e32 v123, 0x3e903f40, v112
	v_mov_b32_e32 v124, v123
	v_fmac_f32_e32 v124, 0xbf75a155, v40
	v_mul_f32_e32 v129, 0x3e903f40, v118
	v_add_f32_e32 v85, v124, v85
	v_fma_f32 v124, v44, s18, -v129
	v_add_f32_e32 v86, v124, v86
	v_mul_f32_e32 v124, 0x3f7d64f0, v114
	v_mov_b32_e32 v128, v124
	v_fmac_f32_e32 v128, 0xbe11bafb, v41
	;; [unrolled: 7-line block ×3, first 2 shown]
	v_add_f32_e32 v85, v131, v85
	v_mul_f32_e32 v131, 0x3f0a6770, v127
	v_fma_f32 v132, v55, s4, -v131
	v_add_f32_e32 v86, v132, v86
	s_and_saveexec_b64 s[2:3], s[0:1]
	s_cbranch_execz .LBB0_9
; %bb.8:
	v_mul_f32_e32 v156, 0xbe903f40, v116
	v_mov_b32_e32 v132, v156
	v_mul_f32_e32 v157, 0x3f0a6770, v117
	v_fmac_f32_e32 v132, 0xbf75a155, v42
	v_mov_b32_e32 v133, v157
	v_add_f32_e32 v132, v37, v132
	v_fmac_f32_e32 v133, 0x3f575c64, v43
	v_mul_f32_e32 v158, 0xbf4178ce, v118
	v_add_f32_e32 v132, v133, v132
	v_mov_b32_e32 v133, v158
	v_fmac_f32_e32 v133, 0xbf27a4f4, v44
	v_mul_f32_e32 v159, 0x3f68dda4, v119
	v_add_f32_e32 v132, v133, v132
	v_mov_b32_e32 v133, v159
	;; [unrolled: 4-line block ×3, first 2 shown]
	v_fmac_f32_e32 v133, 0xbe11bafb, v55
	v_mul_f32_e32 v161, 0xbe903f40, v110
	v_add_f32_e32 v133, v133, v132
	v_fma_f32 v132, v38, s18, -v161
	v_mul_f32_e32 v162, 0x3f0a6770, v111
	v_add_f32_e32 v132, v36, v132
	v_fma_f32 v134, v39, s4, -v162
	;; [unrolled: 3-line block ×5, first 2 shown]
	v_mul_f32_e32 v166, 0xbf4178ce, v116
	v_add_f32_e32 v132, v134, v132
	v_mov_b32_e32 v134, v166
	v_mul_f32_e32 v167, 0x3f7d64f0, v117
	v_fmac_f32_e32 v134, 0xbf27a4f4, v42
	v_mov_b32_e32 v135, v167
	v_add_f32_e32 v134, v37, v134
	v_fmac_f32_e32 v135, 0xbe11bafb, v43
	v_mul_f32_e32 v168, 0xbf0a6770, v118
	v_add_f32_e32 v134, v135, v134
	v_mov_b32_e32 v135, v168
	v_fmac_f32_e32 v135, 0x3f575c64, v44
	v_mul_f32_e32 v169, 0xbe903f40, v119
	v_add_f32_e32 v134, v135, v134
	v_mov_b32_e32 v135, v169
	;; [unrolled: 4-line block ×3, first 2 shown]
	v_fmac_f32_e32 v135, 0x3ed4b147, v55
	v_mul_f32_e32 v171, 0xbf4178ce, v110
	v_add_f32_e32 v135, v135, v134
	v_fma_f32 v134, v38, s16, -v171
	v_mul_f32_e32 v172, 0x3f7d64f0, v111
	v_add_f32_e32 v134, v36, v134
	v_fma_f32 v173, v39, s17, -v172
	v_add_f32_e32 v134, v173, v134
	v_mul_f32_e32 v173, 0xbf0a6770, v112
	v_fma_f32 v174, v40, s4, -v173
	v_add_f32_e32 v134, v174, v134
	v_mul_f32_e32 v174, 0xbe903f40, v114
	v_fma_f32 v175, v41, s18, -v174
	v_add_f32_e32 v134, v175, v134
	v_mul_f32_e32 v175, 0x3f68dda4, v122
	v_fma_f32 v176, v46, s5, -v175
	v_add_f32_e32 v134, v176, v134
	v_mul_f32_e32 v176, 0xbf7d64f0, v116
	v_mov_b32_e32 v116, v176
	v_mul_f32_e32 v177, 0x3e903f40, v117
	v_add_f32_e32 v50, v37, v50
	v_fmac_f32_e32 v116, 0xbe11bafb, v42
	v_mov_b32_e32 v117, v177
	v_add_f32_e32 v50, v50, v51
	v_add_f32_e32 v51, v36, v95
	;; [unrolled: 1-line block ×3, first 2 shown]
	v_fmac_f32_e32 v117, 0xbf75a155, v43
	v_mul_f32_e32 v118, 0x3f68dda4, v118
	v_add_f32_e32 v51, v51, v103
	v_add_f32_e32 v116, v117, v116
	v_mov_b32_e32 v117, v118
	v_mul_f32_e32 v178, 0xbf7d64f0, v110
	v_add_f32_e32 v51, v51, v104
	v_fmac_f32_e32 v117, 0x3ed4b147, v44
	v_mul_f32_e32 v119, 0xbf0a6770, v119
	v_fma_f32 v110, v38, s17, -v178
	v_mul_f32_e32 v179, 0x3e903f40, v111
	v_add_f32_e32 v51, v51, v105
	v_add_f32_e32 v116, v117, v116
	v_mov_b32_e32 v117, v119
	v_add_f32_e32 v110, v36, v110
	v_fma_f32 v111, v39, s18, -v179
	v_mul_f32_e32 v112, 0x3f68dda4, v112
	v_add_f32_e32 v47, v51, v47
	v_fmac_f32_e32 v117, 0x3f575c64, v45
	v_mul_f32_e32 v127, 0xbf4178ce, v127
	v_add_f32_e32 v110, v111, v110
	v_fma_f32 v111, v40, s5, -v112
	v_mul_f32_e32 v114, 0xbf0a6770, v114
	v_add_f32_e32 v47, v47, v48
	v_add_f32_e32 v116, v117, v116
	v_mov_b32_e32 v117, v127
	v_add_f32_e32 v110, v111, v110
	v_fma_f32 v111, v41, s4, -v114
	v_mul_f32_e32 v122, 0xbf4178ce, v122
	v_add_f32_e32 v47, v47, v49
	v_mul_f32_e32 v139, 0x3ed4b147, v42
	v_fmac_f32_e32 v117, 0xbf27a4f4, v55
	v_add_f32_e32 v110, v111, v110
	v_fma_f32 v111, v46, s16, -v122
	v_add_f32_e32 v47, v47, v54
	v_mul_f32_e32 v143, 0xbf27a4f4, v43
	v_add_f32_e32 v117, v117, v116
	v_add_f32_e32 v116, v111, v110
	;; [unrolled: 1-line block ×4, first 2 shown]
	v_mul_f32_e32 v147, 0xbf75a155, v44
	v_add_f32_e32 v110, v37, v110
	v_add_f32_e32 v111, v126, v143
	;; [unrolled: 1-line block ×3, first 2 shown]
	v_fma_f32 v47, v42, s18, -v156
	v_fma_f32 v51, v42, s16, -v166
	v_mul_f32_e32 v151, 0xbe11bafb, v45
	v_add_f32_e32 v110, v111, v110
	v_add_f32_e32 v111, v129, v147
	;; [unrolled: 1-line block ×4, first 2 shown]
	v_fma_f32 v48, v43, s4, -v157
	v_add_f32_e32 v51, v37, v51
	v_fma_f32 v52, v43, s17, -v167
	v_mul_f32_e32 v136, 0x3f575c64, v38
	v_mul_f32_e32 v137, 0x3f575c64, v42
	;; [unrolled: 1-line block ×3, first 2 shown]
	v_add_f32_e32 v110, v111, v110
	v_add_f32_e32 v111, v130, v151
	;; [unrolled: 1-line block ×4, first 2 shown]
	v_fma_f32 v48, v44, s16, -v158
	v_add_f32_e32 v51, v52, v51
	v_fma_f32 v52, v44, s4, -v168
	v_mul_f32_e32 v138, 0x3ed4b147, v38
	v_mul_f32_e32 v140, 0x3ed4b147, v39
	;; [unrolled: 1-line block ×3, first 2 shown]
	v_add_f32_e32 v110, v111, v110
	v_add_f32_e32 v111, v131, v155
	v_add_f32_e32 v106, v106, v137
	v_sub_f32_e32 v56, v136, v56
	v_add_f32_e32 v50, v50, v87
	v_add_f32_e32 v47, v48, v47
	v_fma_f32 v48, v45, s5, -v159
	v_add_f32_e32 v51, v52, v51
	v_fma_f32 v52, v45, s18, -v169
	v_mul_f32_e32 v142, 0xbf27a4f4, v39
	v_mul_f32_e32 v144, 0xbe11bafb, v40
	v_mul_f32_e32 v145, 0xbe11bafb, v44
	v_add_f32_e32 v111, v111, v110
	v_sub_f32_e32 v110, v138, v120
	v_add_f32_e32 v106, v37, v106
	v_add_f32_e32 v107, v107, v141
	;; [unrolled: 1-line block ×3, first 2 shown]
	v_sub_f32_e32 v57, v140, v57
	v_add_f32_e32 v50, v50, v88
	v_add_f32_e32 v47, v48, v47
	v_fma_f32 v48, v55, s17, -v160
	v_fmac_f32_e32 v161, 0xbf75a155, v38
	v_add_f32_e32 v51, v52, v51
	v_fma_f32 v52, v55, s5, -v170
	v_fmac_f32_e32 v171, 0xbf27a4f4, v38
	v_fma_f32 v42, v42, s17, -v176
	v_fmac_f32_e32 v178, 0xbe11bafb, v38
	v_mul_f32_e32 v146, 0xbf75a155, v40
	v_mul_f32_e32 v148, 0xbf27a4f4, v41
	;; [unrolled: 1-line block ×3, first 2 shown]
	v_add_f32_e32 v110, v36, v110
	v_sub_f32_e32 v120, v142, v121
	v_add_f32_e32 v106, v107, v106
	v_add_f32_e32 v107, v108, v145
	;; [unrolled: 1-line block ×3, first 2 shown]
	v_sub_f32_e32 v57, v144, v58
	v_add_f32_e32 v50, v50, v92
	v_add_f32_e32 v48, v48, v47
	;; [unrolled: 1-line block ×3, first 2 shown]
	v_fmac_f32_e32 v162, 0x3f575c64, v39
	v_add_f32_e32 v52, v52, v51
	v_add_f32_e32 v51, v36, v171
	v_fmac_f32_e32 v172, 0xbe11bafb, v39
	v_add_f32_e32 v37, v37, v42
	v_fma_f32 v42, v43, s18, -v177
	v_add_f32_e32 v36, v36, v178
	v_fmac_f32_e32 v179, 0xbf75a155, v39
	v_mul_f32_e32 v150, 0xbe11bafb, v41
	v_mul_f32_e32 v152, 0xbf75a155, v46
	;; [unrolled: 1-line block ×3, first 2 shown]
	v_add_f32_e32 v110, v120, v110
	v_sub_f32_e32 v120, v146, v123
	v_add_f32_e32 v106, v107, v106
	v_add_f32_e32 v107, v109, v149
	;; [unrolled: 1-line block ×3, first 2 shown]
	v_sub_f32_e32 v57, v148, v59
	v_add_f32_e32 v50, v50, v93
	v_add_f32_e32 v47, v162, v47
	v_fmac_f32_e32 v163, 0xbf27a4f4, v40
	v_add_f32_e32 v51, v172, v51
	v_fmac_f32_e32 v173, 0x3f575c64, v40
	v_add_f32_e32 v37, v42, v37
	v_fma_f32 v42, v44, s5, -v118
	v_add_f32_e32 v36, v179, v36
	v_fmac_f32_e32 v112, 0x3ed4b147, v40
	v_mul_f32_e32 v154, 0x3f575c64, v46
	v_add_f32_e32 v110, v120, v110
	v_sub_f32_e32 v120, v150, v124
	v_add_f32_e32 v106, v107, v106
	v_add_f32_e32 v107, v115, v153
	;; [unrolled: 1-line block ×3, first 2 shown]
	v_sub_f32_e32 v57, v152, v113
	v_add_f32_e32 v50, v50, v94
	v_add_f32_e32 v47, v163, v47
	v_fmac_f32_e32 v164, 0x3ed4b147, v41
	v_add_f32_e32 v51, v173, v51
	v_fmac_f32_e32 v174, 0xbf75a155, v41
	v_add_f32_e32 v37, v42, v37
	v_fma_f32 v42, v45, s4, -v119
	v_add_f32_e32 v36, v112, v36
	v_fmac_f32_e32 v114, 0x3f575c64, v41
	v_mul_u32_u24_e32 v38, 0xa5, v99
	v_add_f32_e32 v110, v120, v110
	v_sub_f32_e32 v120, v154, v128
	v_add_f32_e32 v107, v107, v106
	v_add_f32_e32 v106, v57, v56
	;; [unrolled: 1-line block ×4, first 2 shown]
	v_fmac_f32_e32 v165, 0xbe11bafb, v46
	v_add_f32_e32 v51, v174, v51
	v_fmac_f32_e32 v175, 0x3ed4b147, v46
	v_add_f32_e32 v37, v42, v37
	v_fma_f32 v42, v55, s16, -v127
	v_add_f32_e32 v36, v114, v36
	v_fmac_f32_e32 v122, 0xbf27a4f4, v46
	v_add_lshl_u32 v38, v38, v100, 3
	v_add_f32_e32 v110, v120, v110
	v_add_f32_e32 v47, v165, v47
	;; [unrolled: 1-line block ×5, first 2 shown]
	ds_write2_b64 v38, v[49:50], v[106:107] offset1:15
	ds_write2_b64 v38, v[110:111], v[116:117] offset0:30 offset1:45
	ds_write2_b64 v38, v[134:135], v[132:133] offset0:60 offset1:75
	;; [unrolled: 1-line block ×4, first 2 shown]
	ds_write_b64 v38, v[83:84] offset:1200
.LBB0_9:
	s_or_b64 exec, exec, s[2:3]
	s_mov_b32 s2, 0x8d31
	v_mul_u32_u24_sdwa v40, v61, s2 dst_sel:DWORD dst_unused:UNUSED_PAD src0_sel:WORD_0 src1_sel:DWORD
	v_sub_u16_sdwa v42, v61, v40 dst_sel:DWORD dst_unused:UNUSED_PAD src0_sel:DWORD src1_sel:WORD_1
	v_lshrrev_b16_e32 v42, 1, v42
	v_add_u16_sdwa v40, v42, v40 dst_sel:DWORD dst_unused:UNUSED_PAD src0_sel:DWORD src1_sel:WORD_1
	v_lshlrev_b32_e32 v87, 4, v98
	v_lshrrev_b16_e32 v40, 7, v40
	s_waitcnt lgkmcnt(0)
	s_barrier
	global_load_dwordx4 v[36:39], v87, s[14:15] offset:1296
	v_mul_lo_u16_e32 v40, 0xa5, v40
	v_sub_u16_e32 v88, v61, v40
	v_lshlrev_b16_e32 v40, 4, v88
	v_mov_b32_e32 v41, s15
	v_add_co_u32_e64 v40, s[2:3], s14, v40
	v_addc_co_u32_e64 v41, s[2:3], 0, v41, s[2:3]
	global_load_dwordx4 v[40:43], v[40:41], off offset:1296
	v_add_u32_e32 v96, 0x800, v97
	ds_read2_b64 v[48:51], v96 offset0:74 offset1:239
	v_add_u32_e32 v120, 0x1e00, v97
	ds_read2_b64 v[44:47], v97 offset1:165
	v_add_u32_e32 v121, 0x1400, v97
	ds_read2_b64 v[52:55], v120 offset0:30 offset1:195
	ds_read_b64 v[62:63], v97 offset:10560
	ds_read2_b64 v[56:59], v121 offset0:20 offset1:185
	s_waitcnt vmcnt(0) lgkmcnt(0)
	s_barrier
	s_movk_i32 s4, 0x2e68
	v_mul_f32_e32 v92, v51, v37
	v_mul_f32_e32 v93, v50, v37
	;; [unrolled: 1-line block ×5, first 2 shown]
	v_fma_f32 v50, v50, v36, -v92
	v_fmac_f32_e32 v93, v51, v36
	v_fma_f32 v51, v52, v38, -v94
	v_mul_f32_e32 v103, v57, v37
	v_mul_f32_e32 v104, v56, v37
	;; [unrolled: 1-line block ×3, first 2 shown]
	v_fmac_f32_e32 v95, v53, v38
	v_fmac_f32_e32 v106, v55, v38
	v_add_f32_e32 v55, v50, v51
	v_fma_f32 v52, v56, v36, -v103
	v_fmac_f32_e32 v104, v57, v36
	v_fma_f32 v53, v54, v38, -v105
	v_add_f32_e32 v54, v44, v50
	v_add_f32_e32 v57, v93, v95
	v_fma_f32 v44, -0.5, v55, v44
	v_sub_f32_e32 v92, v93, v95
	v_add_f32_e32 v56, v45, v93
	v_sub_f32_e32 v93, v50, v51
	v_add_f32_e32 v94, v46, v52
	v_add_f32_e32 v50, v54, v51
	v_fma_f32 v45, -0.5, v57, v45
	v_mov_b32_e32 v54, v44
	v_add_f32_e32 v103, v52, v53
	v_sub_f32_e32 v108, v52, v53
	v_add_f32_e32 v52, v94, v53
	v_fmac_f32_e32 v44, 0xbf5db3d7, v92
	v_mov_b32_e32 v55, v45
	v_fmac_f32_e32 v54, 0x3f5db3d7, v92
	v_mul_f32_e32 v92, v59, v41
	v_mul_f32_e32 v94, v63, v43
	v_add_f32_e32 v51, v56, v95
	v_fmac_f32_e32 v45, 0x3f5db3d7, v93
	v_fmac_f32_e32 v55, 0xbf5db3d7, v93
	v_mul_f32_e32 v93, v58, v41
	v_mul_f32_e32 v95, v62, v43
	v_fma_f32 v92, v58, v40, -v92
	v_fma_f32 v94, v62, v42, -v94
	v_fmac_f32_e32 v93, v59, v40
	v_fmac_f32_e32 v95, v63, v42
	v_add_f32_e32 v59, v92, v94
	v_sub_f32_e32 v105, v104, v106
	v_add_f32_e32 v107, v47, v104
	v_add_f32_e32 v104, v104, v106
	;; [unrolled: 1-line block ×3, first 2 shown]
	v_sub_f32_e32 v63, v93, v95
	v_add_f32_e32 v62, v49, v93
	v_add_f32_e32 v93, v93, v95
	v_fma_f32 v48, -0.5, v59, v48
	v_fma_f32 v46, -0.5, v103, v46
	v_fmac_f32_e32 v47, -0.5, v104
	v_add_f32_e32 v59, v62, v95
	v_fmac_f32_e32 v49, -0.5, v93
	v_mov_b32_e32 v62, v48
	v_mov_b32_e32 v56, v46
	;; [unrolled: 1-line block ×3, first 2 shown]
	v_fmac_f32_e32 v48, 0xbf5db3d7, v63
	v_fmac_f32_e32 v62, 0x3f5db3d7, v63
	v_sub_f32_e32 v92, v92, v94
	v_mov_b32_e32 v63, v49
	v_lshlrev_b32_e32 v103, 3, v88
	v_add_f32_e32 v53, v107, v106
	v_fmac_f32_e32 v46, 0xbf5db3d7, v105
	v_fmac_f32_e32 v47, 0x3f5db3d7, v108
	;; [unrolled: 1-line block ×4, first 2 shown]
	v_add_f32_e32 v58, v58, v94
	v_fmac_f32_e32 v63, 0xbf5db3d7, v92
	ds_write2_b64 v97, v[50:51], v[54:55] offset1:165
	ds_write2_b64 v96, v[44:45], v[52:53] offset0:74 offset1:239
	ds_write2_b64 v121, v[56:57], v[46:47] offset0:20 offset1:185
	v_add_u32_e32 v44, 0x1e00, v103
	v_fmac_f32_e32 v49, 0x3f5db3d7, v92
	ds_write2_b64 v44, v[58:59], v[62:63] offset0:30 offset1:195
	ds_write_b64 v103, v[48:49] offset:10560
	s_waitcnt lgkmcnt(0)
	s_barrier
	global_load_dwordx4 v[44:47], v87, s[14:15] offset:3936
	v_lshlrev_b32_e32 v48, 4, v60
	global_load_dwordx4 v[48:51], v48, s[14:15] offset:3936
	v_lshlrev_b32_e32 v52, 4, v61
	;; [unrolled: 2-line block ×3, first 2 shown]
	v_mov_b32_e32 v57, s13
	v_add_co_u32_e64 v110, s[2:3], s12, v56
	v_addc_co_u32_e64 v111, s[2:3], 0, v57, s[2:3]
	ds_read2_b64 v[56:59], v96 offset0:74 offset1:239
	ds_read2_b64 v[60:63], v97 offset1:165
	ds_read2_b64 v[92:95], v120 offset0:30 offset1:195
	ds_read2_b64 v[104:107], v121 offset0:20 offset1:185
	ds_read_b64 v[87:88], v97 offset:10560
	s_movk_i32 s2, 0x2000
	s_waitcnt vmcnt(2) lgkmcnt(4)
	v_mul_f32_e32 v109, v58, v45
	s_waitcnt lgkmcnt(2)
	v_mul_f32_e32 v113, v92, v47
	v_mul_f32_e32 v108, v59, v45
	;; [unrolled: 1-line block ×3, first 2 shown]
	s_waitcnt vmcnt(1) lgkmcnt(1)
	v_mul_f32_e32 v114, v105, v49
	v_fmac_f32_e32 v109, v59, v44
	v_fmac_f32_e32 v113, v93, v46
	v_mul_f32_e32 v115, v104, v49
	v_mul_f32_e32 v116, v95, v51
	s_waitcnt vmcnt(0)
	v_mul_f32_e32 v118, v107, v53
	v_mul_f32_e32 v119, v106, v53
	s_waitcnt lgkmcnt(0)
	v_mul_f32_e32 v122, v88, v55
	v_fma_f32 v58, v58, v44, -v108
	v_fma_f32 v59, v92, v46, -v112
	v_fma_f32 v92, v104, v48, -v114
	v_add_f32_e32 v104, v109, v113
	v_mul_f32_e32 v117, v94, v51
	v_mul_f32_e32 v123, v87, v55
	v_fma_f32 v93, v94, v50, -v116
	v_fma_f32 v108, v106, v52, -v118
	v_fmac_f32_e32 v119, v107, v52
	v_fma_f32 v107, v87, v54, -v122
	v_add_f32_e32 v87, v60, v58
	v_add_f32_e32 v94, v61, v109
	v_add_f32_e32 v106, v62, v92
	v_fma_f32 v61, -0.5, v104, v61
	v_fmac_f32_e32 v115, v105, v48
	v_fmac_f32_e32 v117, v95, v50
	;; [unrolled: 1-line block ×3, first 2 shown]
	v_add_f32_e32 v88, v58, v59
	v_sub_f32_e32 v95, v109, v113
	v_sub_f32_e32 v105, v58, v59
	v_add_f32_e32 v109, v92, v93
	v_sub_f32_e32 v116, v92, v93
	v_add_f32_e32 v58, v87, v59
	v_add_f32_e32 v87, v106, v93
	v_mov_b32_e32 v93, v61
	v_fmac_f32_e32 v61, 0x3f5db3d7, v105
	v_fmac_f32_e32 v93, 0xbf5db3d7, v105
	v_add_f32_e32 v105, v108, v107
	v_add_f32_e32 v104, v56, v108
	v_fma_f32 v56, -0.5, v105, v56
	v_sub_f32_e32 v112, v115, v117
	v_add_f32_e32 v114, v63, v115
	v_add_f32_e32 v115, v115, v117
	v_fma_f32 v60, -0.5, v88, v60
	v_fma_f32 v62, -0.5, v109, v62
	v_sub_f32_e32 v105, v119, v123
	v_mov_b32_e32 v106, v56
	v_add_f32_e32 v109, v119, v123
	v_fmac_f32_e32 v63, -0.5, v115
	v_mov_b32_e32 v92, v60
	v_fmac_f32_e32 v106, 0x3f5db3d7, v105
	v_fmac_f32_e32 v56, 0xbf5db3d7, v105
	v_add_f32_e32 v105, v57, v119
	v_fmac_f32_e32 v57, -0.5, v109
	v_sub_f32_e32 v108, v108, v107
	v_add_f32_e32 v59, v94, v113
	v_fmac_f32_e32 v60, 0xbf5db3d7, v95
	v_mov_b32_e32 v94, v62
	v_fmac_f32_e32 v62, 0xbf5db3d7, v112
	v_fmac_f32_e32 v92, 0x3f5db3d7, v95
	v_mov_b32_e32 v95, v63
	v_fmac_f32_e32 v63, 0x3f5db3d7, v116
	v_add_f32_e32 v104, v104, v107
	v_mov_b32_e32 v107, v57
	v_fmac_f32_e32 v57, 0x3f5db3d7, v108
	v_add_u32_e32 v122, 0x2400, v97
	v_add_f32_e32 v88, v114, v117
	v_fmac_f32_e32 v94, 0x3f5db3d7, v112
	v_fmac_f32_e32 v95, 0xbf5db3d7, v116
	v_add_f32_e32 v105, v105, v123
	v_fmac_f32_e32 v107, 0xbf5db3d7, v108
	ds_write_b64 v97, v[92:93] offset:3960
	ds_write_b64 v97, v[60:61] offset:7920
	ds_write2_b64 v97, v[58:59], v[87:88] offset1:165
	ds_write_b64 v97, v[104:105] offset:2640
	ds_write2_b64 v121, v[94:95], v[106:107] offset0:20 offset1:185
	ds_write2_b64 v122, v[62:63], v[56:57] offset0:3 offset1:168
	v_add_co_u32_e64 v56, s[2:3], s2, v110
	v_addc_co_u32_e64 v57, s[2:3], 0, v111, s[2:3]
	s_waitcnt lgkmcnt(0)
	s_barrier
	global_load_dwordx2 v[60:61], v[56:57], off offset:3688
	v_add_co_u32_e64 v56, s[2:3], s4, v110
	v_addc_co_u32_e64 v57, s[2:3], 0, v111, s[2:3]
	global_load_dwordx2 v[87:88], v[56:57], off offset:1320
	global_load_dwordx2 v[104:105], v[56:57], off offset:3960
	s_movk_i32 s2, 0x4000
	v_add_co_u32_e64 v58, s[2:3], s2, v110
	v_addc_co_u32_e64 v59, s[2:3], 0, v111, s[2:3]
	global_load_dwordx2 v[106:107], v[58:59], off offset:3416
	global_load_dwordx2 v[108:109], v[58:59], off offset:776
	s_movk_i32 s2, 0x5000
	v_add_co_u32_e64 v62, s[2:3], s2, v110
	v_addc_co_u32_e64 v63, s[2:3], 0, v111, s[2:3]
	global_load_dwordx2 v[110:111], v[62:63], off offset:640
	global_load_dwordx2 v[112:113], v[56:57], off offset:2640
	;; [unrolled: 1-line block ×4, first 2 shown]
	ds_read2_b64 v[56:59], v97 offset1:165
	v_add_u32_e32 v123, 0xe00, v97
	s_waitcnt vmcnt(8) lgkmcnt(0)
	v_mul_f32_e32 v63, v57, v61
	v_mul_f32_e32 v62, v56, v61
	v_fma_f32 v61, v56, v60, -v63
	v_fmac_f32_e32 v62, v57, v60
	s_waitcnt vmcnt(7)
	v_mul_f32_e32 v92, v59, v88
	v_mul_f32_e32 v119, v58, v88
	ds_write_b64 v97, v[61:62]
	ds_read2_b64 v[60:63], v96 offset0:74 offset1:239
	v_fma_f32 v118, v58, v87, -v92
	ds_read2_b64 v[92:95], v120 offset0:30 offset1:195
	v_fmac_f32_e32 v119, v59, v87
	ds_read2_b64 v[56:59], v121 offset0:20 offset1:185
	s_waitcnt vmcnt(6) lgkmcnt(2)
	v_mul_f32_e32 v87, v63, v105
	v_mul_f32_e32 v88, v62, v105
	s_waitcnt vmcnt(5) lgkmcnt(1)
	v_mul_f32_e32 v124, v93, v107
	v_mul_f32_e32 v105, v92, v107
	;; [unrolled: 3-line block ×3, first 2 shown]
	s_waitcnt vmcnt(3)
	v_mul_f32_e32 v126, v95, v111
	v_mul_f32_e32 v109, v94, v111
	s_waitcnt vmcnt(2)
	v_mul_f32_e32 v111, v61, v113
	v_fmac_f32_e32 v107, v57, v108
	v_mul_f32_e32 v57, v60, v113
	v_fma_f32 v87, v62, v104, -v87
	v_fmac_f32_e32 v88, v63, v104
	v_fma_f32 v104, v92, v106, -v124
	v_fmac_f32_e32 v105, v93, v106
	v_fma_f32 v106, v56, v108, -v125
	v_fma_f32 v56, v60, v112, -v111
	v_fmac_f32_e32 v57, v61, v112
	v_add_u32_e32 v60, 0x400, v97
	ds_write2_b64 v60, v[118:119], v[56:57] offset0:37 offset1:202
	ds_read_b64 v[60:61], v97 offset:10560
	s_waitcnt vmcnt(1)
	v_mul_f32_e32 v56, v59, v115
	v_mul_f32_e32 v57, v58, v115
	v_fma_f32 v56, v58, v114, -v56
	v_fmac_f32_e32 v57, v59, v114
	v_add_u32_e32 v58, 0x1800, v97
	ds_write2_b64 v58, v[56:57], v[104:105] offset0:57 offset1:222
	s_waitcnt vmcnt(0) lgkmcnt(1)
	v_mul_f32_e32 v56, v61, v117
	v_mul_f32_e32 v57, v60, v117
	v_fma_f32 v108, v94, v110, -v126
	v_fmac_f32_e32 v109, v95, v110
	v_fma_f32 v56, v60, v116, -v56
	v_fmac_f32_e32 v57, v61, v116
	ds_write2_b64 v123, v[87:88], v[106:107] offset0:47 offset1:212
	ds_write2_b64 v122, v[108:109], v[56:57] offset0:3 offset1:168
	s_waitcnt lgkmcnt(0)
	s_barrier
	ds_read2_b64 v[56:59], v97 offset1:165
	ds_read2_b64 v[60:63], v96 offset0:74 offset1:239
	ds_read2_b64 v[92:95], v120 offset0:30 offset1:195
	;; [unrolled: 1-line block ×3, first 2 shown]
	ds_read_b64 v[108:109], v97 offset:10560
	s_waitcnt lgkmcnt(0)
	v_add_f32_e32 v87, v56, v62
	v_add_f32_e32 v110, v87, v92
	v_add_f32_e32 v87, v62, v92
	v_fma_f32 v112, -0.5, v87, v56
	v_sub_f32_e32 v56, v63, v93
	v_mov_b32_e32 v114, v112
	v_fmac_f32_e32 v114, 0xbf5db3d7, v56
	v_fmac_f32_e32 v112, 0x3f5db3d7, v56
	v_add_f32_e32 v56, v57, v63
	v_add_f32_e32 v111, v56, v93
	v_add_f32_e32 v56, v63, v93
	v_fma_f32 v113, -0.5, v56, v57
	v_sub_f32_e32 v56, v62, v92
	v_mov_b32_e32 v115, v113
	v_fmac_f32_e32 v115, 0x3f5db3d7, v56
	v_fmac_f32_e32 v113, 0xbf5db3d7, v56
	;; [unrolled: 8-line block ×3, first 2 shown]
	v_add_f32_e32 v56, v59, v105
	v_add_f32_e32 v63, v56, v95
	;; [unrolled: 1-line block ×3, first 2 shown]
	v_fmac_f32_e32 v59, -0.5, v56
	v_sub_f32_e32 v56, v104, v94
	v_mov_b32_e32 v93, v59
	v_add_f32_e32 v57, v106, v108
	v_fmac_f32_e32 v93, 0x3f5db3d7, v56
	v_fmac_f32_e32 v59, 0xbf5db3d7, v56
	v_add_f32_e32 v56, v60, v106
	v_fma_f32 v60, -0.5, v57, v60
	v_sub_f32_e32 v57, v107, v109
	v_mov_b32_e32 v87, v60
	v_add_f32_e32 v88, v107, v109
	v_fmac_f32_e32 v87, 0xbf5db3d7, v57
	v_fmac_f32_e32 v60, 0x3f5db3d7, v57
	v_add_f32_e32 v57, v61, v107
	v_fmac_f32_e32 v61, -0.5, v88
	v_sub_f32_e32 v94, v106, v108
	v_mov_b32_e32 v88, v61
	v_add_f32_e32 v56, v56, v108
	v_add_f32_e32 v57, v57, v109
	v_fmac_f32_e32 v88, 0x3f5db3d7, v94
	v_fmac_f32_e32 v61, 0xbf5db3d7, v94
	s_barrier
	ds_write2_b64 v89, v[110:111], v[114:115] offset1:1
	ds_write_b64 v89, v[112:113] offset:16
	ds_write2_b64 v90, v[62:63], v[92:93] offset1:1
	ds_write_b64 v90, v[58:59] offset:16
	;; [unrolled: 2-line block ×3, first 2 shown]
	s_waitcnt lgkmcnt(0)
	s_barrier
	ds_read_b64 v[62:63], v97
	ds_read_b64 v[95:96], v97 offset:2376
	ds_read_b64 v[93:94], v97 offset:4752
	;; [unrolled: 1-line block ×4, first 2 shown]
	s_and_saveexec_b64 s[2:3], vcc
	s_cbranch_execz .LBB0_11
; %bb.10:
	ds_read_b64 v[58:59], v97 offset:1320
	ds_read_b64 v[56:57], v97 offset:3696
	ds_read_b64 v[87:88], v97 offset:6072
	ds_read_b64 v[60:61], v97 offset:8448
	ds_read_b64 v[85:86], v97 offset:10824
.LBB0_11:
	s_or_b64 exec, exec, s[2:3]
	s_waitcnt lgkmcnt(3)
	v_mul_f32_e32 v104, v5, v96
	v_mul_f32_e32 v5, v5, v95
	v_fmac_f32_e32 v104, v4, v95
	v_fma_f32 v95, v4, v96, -v5
	s_waitcnt lgkmcnt(2)
	v_mul_f32_e32 v96, v7, v94
	v_mul_f32_e32 v4, v7, v93
	s_waitcnt lgkmcnt(1)
	v_mul_f32_e32 v7, v1, v92
	v_mul_f32_e32 v1, v1, v91
	v_fmac_f32_e32 v96, v6, v93
	v_fmac_f32_e32 v7, v0, v91
	v_fma_f32 v91, v0, v92, -v1
	s_waitcnt lgkmcnt(0)
	v_mul_f32_e32 v92, v3, v90
	v_mul_f32_e32 v0, v3, v89
	v_fmac_f32_e32 v92, v2, v89
	v_fma_f32 v89, v2, v90, -v0
	v_mul_f32_e32 v90, v13, v57
	v_mul_f32_e32 v0, v13, v56
	v_add_f32_e32 v1, v96, v7
	v_fma_f32 v6, v6, v94, -v4
	v_fmac_f32_e32 v90, v12, v56
	v_fma_f32 v12, v12, v57, -v0
	v_mul_f32_e32 v0, v15, v87
	v_fma_f32 v4, -0.5, v1, v62
	v_mul_f32_e32 v13, v15, v88
	v_fma_f32 v56, v14, v88, -v0
	v_mul_f32_e32 v57, v9, v61
	v_mul_f32_e32 v0, v9, v60
	v_sub_f32_e32 v1, v95, v89
	v_mov_b32_e32 v2, v4
	v_fmac_f32_e32 v13, v14, v87
	v_fmac_f32_e32 v57, v8, v60
	v_fma_f32 v87, v8, v61, -v0
	v_fmac_f32_e32 v2, 0xbf737871, v1
	v_sub_f32_e32 v3, v6, v91
	v_sub_f32_e32 v5, v104, v96
	;; [unrolled: 1-line block ×3, first 2 shown]
	v_fmac_f32_e32 v4, 0x3f737871, v1
	v_fmac_f32_e32 v2, 0xbf167918, v3
	v_add_f32_e32 v5, v5, v8
	v_fmac_f32_e32 v4, 0x3f167918, v3
	v_mul_f32_e32 v9, v11, v86
	v_mul_f32_e32 v0, v11, v85
	v_fmac_f32_e32 v2, 0x3e9e377a, v5
	v_fmac_f32_e32 v4, 0x3e9e377a, v5
	v_add_f32_e32 v5, v104, v92
	v_fmac_f32_e32 v9, v10, v85
	v_fma_f32 v85, v10, v86, -v0
	v_add_f32_e32 v0, v62, v104
	v_fma_f32 v62, -0.5, v5, v62
	v_mov_b32_e32 v60, v62
	v_fmac_f32_e32 v60, 0x3f737871, v3
	v_sub_f32_e32 v5, v96, v104
	v_sub_f32_e32 v8, v7, v92
	v_fmac_f32_e32 v62, 0xbf737871, v3
	v_fmac_f32_e32 v60, 0xbf167918, v1
	v_add_f32_e32 v5, v5, v8
	v_fmac_f32_e32 v62, 0x3f167918, v1
	v_add_f32_e32 v3, v6, v91
	v_fmac_f32_e32 v60, 0x3e9e377a, v5
	v_fmac_f32_e32 v62, 0x3e9e377a, v5
	v_fma_f32 v5, -0.5, v3, v63
	v_add_f32_e32 v0, v0, v96
	v_sub_f32_e32 v8, v104, v92
	v_mov_b32_e32 v3, v5
	v_add_f32_e32 v0, v0, v7
	v_fmac_f32_e32 v3, 0x3f737871, v8
	v_sub_f32_e32 v7, v96, v7
	v_sub_f32_e32 v10, v95, v6
	;; [unrolled: 1-line block ×3, first 2 shown]
	v_fmac_f32_e32 v5, 0xbf737871, v8
	v_fmac_f32_e32 v3, 0x3f167918, v7
	v_add_f32_e32 v10, v10, v11
	v_fmac_f32_e32 v5, 0xbf167918, v7
	v_fmac_f32_e32 v3, 0x3e9e377a, v10
	;; [unrolled: 1-line block ×3, first 2 shown]
	v_add_f32_e32 v10, v95, v89
	v_add_f32_e32 v1, v63, v95
	v_fmac_f32_e32 v63, -0.5, v10
	v_mov_b32_e32 v61, v63
	v_fmac_f32_e32 v61, 0xbf737871, v7
	v_fmac_f32_e32 v63, 0x3f737871, v7
	v_add_f32_e32 v7, v13, v57
	v_fma_f32 v14, -0.5, v7, v58
	v_add_f32_e32 v1, v1, v6
	v_fmac_f32_e32 v61, 0x3f167918, v8
	v_sub_f32_e32 v6, v6, v95
	v_sub_f32_e32 v10, v91, v89
	v_fmac_f32_e32 v63, 0xbf167918, v8
	v_sub_f32_e32 v7, v12, v85
	v_mov_b32_e32 v8, v14
	v_add_f32_e32 v6, v6, v10
	v_fmac_f32_e32 v8, 0xbf737871, v7
	v_sub_f32_e32 v11, v56, v87
	v_sub_f32_e32 v10, v90, v13
	;; [unrolled: 1-line block ×3, first 2 shown]
	v_fmac_f32_e32 v14, 0x3f737871, v7
	v_fmac_f32_e32 v8, 0xbf167918, v11
	v_add_f32_e32 v10, v10, v15
	v_fmac_f32_e32 v14, 0x3f167918, v11
	v_fmac_f32_e32 v8, 0x3e9e377a, v10
	;; [unrolled: 1-line block ×3, first 2 shown]
	v_add_f32_e32 v10, v90, v9
	v_fmac_f32_e32 v61, 0x3e9e377a, v6
	v_fmac_f32_e32 v63, 0x3e9e377a, v6
	v_add_f32_e32 v6, v90, v58
	v_fmac_f32_e32 v58, -0.5, v10
	v_mov_b32_e32 v10, v58
	v_fmac_f32_e32 v10, 0x3f737871, v11
	v_sub_f32_e32 v15, v13, v90
	v_sub_f32_e32 v86, v57, v9
	v_fmac_f32_e32 v58, 0xbf737871, v11
	v_add_f32_e32 v6, v13, v6
	v_fmac_f32_e32 v10, 0xbf167918, v7
	v_add_f32_e32 v15, v15, v86
	;; [unrolled: 2-line block ×3, first 2 shown]
	v_add_f32_e32 v6, v57, v6
	v_fmac_f32_e32 v10, 0x3e9e377a, v15
	v_fmac_f32_e32 v58, 0x3e9e377a, v15
	v_fma_f32 v15, -0.5, v11, v59
	v_add_f32_e32 v6, v9, v6
	v_sub_f32_e32 v86, v90, v9
	v_mov_b32_e32 v9, v15
	v_fmac_f32_e32 v9, 0x3f737871, v86
	v_sub_f32_e32 v13, v13, v57
	v_sub_f32_e32 v11, v12, v56
	;; [unrolled: 1-line block ×3, first 2 shown]
	v_fmac_f32_e32 v15, 0xbf737871, v86
	v_fmac_f32_e32 v9, 0x3f167918, v13
	v_add_f32_e32 v11, v11, v57
	v_fmac_f32_e32 v15, 0xbf167918, v13
	v_fmac_f32_e32 v9, 0x3e9e377a, v11
	;; [unrolled: 1-line block ×3, first 2 shown]
	v_add_f32_e32 v11, v12, v85
	v_add_f32_e32 v7, v12, v59
	v_fmac_f32_e32 v59, -0.5, v11
	v_mov_b32_e32 v11, v59
	v_add_f32_e32 v7, v56, v7
	v_fmac_f32_e32 v11, 0xbf737871, v13
	v_sub_f32_e32 v12, v56, v12
	v_sub_f32_e32 v56, v87, v85
	v_fmac_f32_e32 v59, 0x3f737871, v13
	v_add_f32_e32 v1, v1, v91
	v_add_f32_e32 v7, v87, v7
	v_fmac_f32_e32 v11, 0x3f167918, v86
	v_add_f32_e32 v12, v12, v56
	v_fmac_f32_e32 v59, 0xbf167918, v86
	v_add_f32_e32 v0, v0, v92
	v_add_f32_e32 v1, v1, v89
	;; [unrolled: 1-line block ×3, first 2 shown]
	v_fmac_f32_e32 v11, 0x3e9e377a, v12
	v_fmac_f32_e32 v59, 0x3e9e377a, v12
	s_barrier
	ds_write2_b64 v101, v[0:1], v[2:3] offset1:3
	ds_write2_b64 v101, v[60:61], v[62:63] offset0:6 offset1:9
	ds_write_b64 v101, v[4:5] offset:96
	s_and_saveexec_b64 s[2:3], vcc
	s_cbranch_execz .LBB0_13
; %bb.12:
	v_lshlrev_b32_e32 v12, 3, v102
	ds_write2_b64 v12, v[6:7], v[8:9] offset1:3
	ds_write2_b64 v12, v[10:11], v[58:59] offset0:6 offset1:9
	ds_write_b64 v12, v[14:15] offset:96
.LBB0_13:
	s_or_b64 exec, exec, s[2:3]
	s_waitcnt lgkmcnt(0)
	s_barrier
	s_and_saveexec_b64 s[2:3], s[0:1]
	s_cbranch_execz .LBB0_15
; %bb.14:
	v_add_u32_e32 v4, 0x800, v97
	ds_read2_b64 v[60:63], v4 offset0:14 offset1:149
	v_add_u32_e32 v4, 0x1000, v97
	ds_read2_b64 v[0:3], v97 offset1:135
	ds_read2_b64 v[4:7], v4 offset0:28 offset1:163
	v_add_u32_e32 v8, 0x1800, v97
	v_add_u32_e32 v9, 0x2000, v97
	ds_read2_b64 v[12:15], v9 offset0:56 offset1:191
	ds_read2_b64 v[8:11], v8 offset0:42 offset1:177
	ds_read_b64 v[83:84], v97 offset:10800
	s_waitcnt lgkmcnt(2)
	v_mov_b32_e32 v58, v12
	v_mov_b32_e32 v59, v13
.LBB0_15:
	s_or_b64 exec, exec, s[2:3]
	s_waitcnt lgkmcnt(0)
	s_barrier
	s_and_saveexec_b64 s[2:3], s[0:1]
	s_cbranch_execz .LBB0_17
; %bb.16:
	v_mul_f32_e32 v13, v29, v2
	v_mul_f32_e32 v12, v35, v83
	v_fma_f32 v13, v28, v3, -v13
	v_mul_f32_e32 v29, v29, v3
	v_mul_f32_e32 v3, v33, v14
	v_fma_f32 v12, v34, v84, -v12
	v_fmac_f32_e32 v29, v28, v2
	v_mul_f32_e32 v28, v35, v84
	v_fma_f32 v35, v32, v15, -v3
	v_mul_f32_e32 v3, v31, v60
	v_add_f32_e32 v56, v12, v13
	v_fmac_f32_e32 v28, v34, v83
	v_fma_f32 v83, v30, v61, -v3
	v_mul_f32_e32 v57, 0xbf75a155, v56
	v_add_f32_e32 v84, v35, v83
	v_mul_f32_e32 v31, v31, v61
	v_mul_f32_e32 v15, v33, v15
	v_sub_f32_e32 v34, v29, v28
	v_mov_b32_e32 v2, v57
	v_mul_f32_e32 v85, 0x3f575c64, v84
	v_fmac_f32_e32 v31, v30, v60
	v_fmac_f32_e32 v15, v32, v14
	;; [unrolled: 1-line block ×3, first 2 shown]
	v_sub_f32_e32 v30, v31, v15
	v_mov_b32_e32 v3, v85
	v_add_f32_e32 v2, v1, v2
	v_fmac_f32_e32 v3, 0xbf0a6770, v30
	v_add_f32_e32 v2, v3, v2
	v_mul_f32_e32 v3, v23, v58
	v_fma_f32 v14, v22, v59, -v3
	v_mul_f32_e32 v3, v25, v62
	v_fma_f32 v32, v24, v63, -v3
	v_add_f32_e32 v33, v14, v32
	v_mul_f32_e32 v25, v25, v63
	v_mul_f32_e32 v23, v23, v59
	;; [unrolled: 1-line block ×3, first 2 shown]
	v_fmac_f32_e32 v25, v24, v62
	v_fmac_f32_e32 v23, v22, v58
	v_sub_f32_e32 v22, v25, v23
	v_mov_b32_e32 v3, v60
	v_fmac_f32_e32 v3, 0x3f4178ce, v22
	v_add_f32_e32 v2, v3, v2
	v_mul_f32_e32 v3, v21, v10
	v_fma_f32 v24, v20, v11, -v3
	v_mul_f32_e32 v3, v27, v4
	v_fma_f32 v58, v26, v5, -v3
	v_add_f32_e32 v59, v24, v58
	v_mul_f32_e32 v27, v27, v5
	v_mul_f32_e32 v21, v21, v11
	;; [unrolled: 1-line block ×3, first 2 shown]
	v_fmac_f32_e32 v27, v26, v4
	v_fmac_f32_e32 v21, v20, v10
	v_sub_f32_e32 v26, v27, v21
	v_mov_b32_e32 v3, v61
	v_fmac_f32_e32 v3, 0xbf68dda4, v26
	v_add_f32_e32 v2, v3, v2
	v_mul_f32_e32 v3, v19, v8
	v_fma_f32 v20, v18, v9, -v3
	v_mul_f32_e32 v3, v17, v6
	v_fma_f32 v62, v16, v7, -v3
	v_mul_f32_e32 v17, v17, v7
	v_add_f32_e32 v10, v20, v62
	v_fmac_f32_e32 v17, v16, v6
	v_mul_f32_e32 v16, v19, v9
	v_mul_f32_e32 v63, 0xbe11bafb, v10
	v_fmac_f32_e32 v16, v18, v8
	v_sub_f32_e32 v86, v17, v16
	v_mov_b32_e32 v3, v63
	v_sub_f32_e32 v18, v13, v12
	v_fmac_f32_e32 v3, 0x3f7d64f0, v86
	v_mul_f32_e32 v19, 0xbe903f40, v18
	v_sub_f32_e32 v89, v83, v35
	v_add_f32_e32 v3, v3, v2
	v_add_f32_e32 v87, v28, v29
	v_mov_b32_e32 v2, v19
	v_mul_f32_e32 v90, 0x3f0a6770, v89
	v_fmac_f32_e32 v2, 0xbf75a155, v87
	v_add_f32_e32 v88, v15, v31
	v_mov_b32_e32 v4, v90
	v_sub_f32_e32 v92, v32, v14
	v_add_f32_e32 v2, v0, v2
	v_fmac_f32_e32 v4, 0x3f575c64, v88
	v_mul_f32_e32 v93, 0xbf4178ce, v92
	v_add_f32_e32 v2, v4, v2
	v_add_f32_e32 v91, v23, v25
	v_mov_b32_e32 v4, v93
	v_sub_f32_e32 v95, v58, v24
	v_fmac_f32_e32 v4, 0xbf27a4f4, v91
	v_mul_f32_e32 v96, 0x3f68dda4, v95
	v_add_f32_e32 v2, v4, v2
	v_add_f32_e32 v94, v21, v27
	v_mov_b32_e32 v4, v96
	v_sub_f32_e32 v102, v62, v20
	v_fmac_f32_e32 v4, 0x3ed4b147, v94
	v_mul_f32_e32 v104, 0xbf7d64f0, v102
	v_add_f32_e32 v2, v4, v2
	v_add_f32_e32 v101, v16, v17
	v_mov_b32_e32 v4, v104
	v_fmac_f32_e32 v4, 0xbe11bafb, v101
	v_mul_f32_e32 v105, 0xbf27a4f4, v56
	v_add_f32_e32 v2, v4, v2
	v_mov_b32_e32 v4, v105
	v_mul_f32_e32 v106, 0xbe11bafb, v84
	v_fmac_f32_e32 v4, 0x3f4178ce, v34
	v_mov_b32_e32 v5, v106
	v_add_f32_e32 v4, v1, v4
	v_fmac_f32_e32 v5, 0xbf7d64f0, v30
	v_mul_f32_e32 v107, 0x3f575c64, v33
	v_add_f32_e32 v4, v5, v4
	v_mov_b32_e32 v5, v107
	v_fmac_f32_e32 v5, 0x3f0a6770, v22
	v_mul_f32_e32 v108, 0xbf75a155, v59
	v_add_f32_e32 v4, v5, v4
	v_mov_b32_e32 v5, v108
	v_fmac_f32_e32 v5, 0x3e903f40, v26
	v_mul_f32_e32 v109, 0x3ed4b147, v10
	v_add_f32_e32 v4, v5, v4
	v_mov_b32_e32 v5, v109
	v_fmac_f32_e32 v5, 0xbf68dda4, v86
	v_mul_f32_e32 v110, 0xbf4178ce, v18
	v_add_f32_e32 v5, v5, v4
	v_mov_b32_e32 v4, v110
	v_mul_f32_e32 v111, 0x3f7d64f0, v89
	v_fmac_f32_e32 v4, 0xbf27a4f4, v87
	v_mov_b32_e32 v6, v111
	v_add_f32_e32 v4, v0, v4
	v_fmac_f32_e32 v6, 0xbe11bafb, v88
	v_mul_f32_e32 v112, 0xbf0a6770, v92
	v_add_f32_e32 v4, v6, v4
	v_mov_b32_e32 v6, v112
	v_fmac_f32_e32 v6, 0x3f575c64, v91
	v_mul_f32_e32 v113, 0xbe903f40, v95
	v_add_f32_e32 v4, v6, v4
	v_mov_b32_e32 v6, v113
	v_fmac_f32_e32 v6, 0xbf75a155, v94
	v_mul_f32_e32 v114, 0x3f68dda4, v102
	;; [unrolled: 20-line block ×5, first 2 shown]
	v_add_f32_e32 v8, v9, v8
	v_mov_b32_e32 v9, v129
	v_fmac_f32_e32 v9, 0xbf0a6770, v86
	v_mul_f32_e32 v130, 0xbf68dda4, v18
	v_add_f32_e32 v9, v9, v8
	v_mov_b32_e32 v8, v130
	v_mul_f32_e32 v131, 0xbf4178ce, v89
	v_fmac_f32_e32 v8, 0x3ed4b147, v87
	v_mov_b32_e32 v11, v131
	v_add_f32_e32 v13, v13, v1
	v_add_f32_e32 v8, v0, v8
	v_fmac_f32_e32 v11, 0xbf27a4f4, v88
	v_mul_f32_e32 v132, 0x3e903f40, v92
	v_add_f32_e32 v13, v83, v13
	v_add_f32_e32 v8, v11, v8
	v_mov_b32_e32 v11, v132
	v_add_f32_e32 v13, v32, v13
	v_fmac_f32_e32 v11, 0xbf75a155, v91
	v_mul_f32_e32 v133, 0x3f7d64f0, v95
	v_add_f32_e32 v13, v58, v13
	v_add_f32_e32 v8, v11, v8
	v_mov_b32_e32 v11, v133
	v_add_f32_e32 v13, v62, v13
	v_fmac_f32_e32 v11, 0xbe11bafb, v94
	v_mul_f32_e32 v134, 0x3f0a6770, v102
	v_add_f32_e32 v13, v20, v13
	v_add_f32_e32 v8, v11, v8
	v_mov_b32_e32 v11, v134
	v_add_f32_e32 v13, v24, v13
	v_fmac_f32_e32 v11, 0x3f575c64, v101
	v_mul_f32_e32 v56, 0x3f575c64, v56
	v_add_f32_e32 v13, v14, v13
	v_add_f32_e32 v8, v11, v8
	v_mov_b32_e32 v11, v56
	v_mul_f32_e32 v84, 0x3ed4b147, v84
	v_add_f32_e32 v13, v35, v13
	v_fmac_f32_e32 v11, 0x3f0a6770, v34
	v_mov_b32_e32 v135, v84
	v_add_f32_e32 v13, v12, v13
	v_add_f32_e32 v12, v0, v29
	;; [unrolled: 1-line block ×3, first 2 shown]
	v_fmac_f32_e32 v135, 0x3f68dda4, v30
	v_mul_f32_e32 v33, 0xbe11bafb, v33
	v_add_f32_e32 v12, v31, v12
	v_add_f32_e32 v11, v135, v11
	v_mov_b32_e32 v135, v33
	v_add_f32_e32 v12, v25, v12
	v_fmac_f32_e32 v135, 0x3f7d64f0, v22
	v_mul_f32_e32 v59, 0xbf27a4f4, v59
	v_add_f32_e32 v12, v27, v12
	v_fmac_f32_e32 v57, 0xbe903f40, v34
	v_add_f32_e32 v11, v135, v11
	v_mov_b32_e32 v135, v59
	v_add_f32_e32 v12, v17, v12
	v_add_f32_e32 v14, v1, v57
	v_fmac_f32_e32 v85, 0x3f0a6770, v30
	v_fmac_f32_e32 v135, 0x3f4178ce, v26
	v_add_f32_e32 v12, v16, v12
	v_add_f32_e32 v14, v85, v14
	v_fmac_f32_e32 v60, 0xbf4178ce, v22
	v_add_f32_e32 v11, v135, v11
	v_mul_f32_e32 v135, 0xbf75a155, v10
	v_add_f32_e32 v12, v21, v12
	v_add_f32_e32 v14, v60, v14
	v_fmac_f32_e32 v61, 0x3f68dda4, v26
	s_mov_b32 s0, 0xbf75a155
	v_mov_b32_e32 v10, v135
	v_add_f32_e32 v12, v23, v12
	v_add_f32_e32 v14, v61, v14
	v_fmac_f32_e32 v63, 0xbf7d64f0, v86
	s_mov_b32 s1, 0x3f575c64
	v_fmac_f32_e32 v10, 0x3e903f40, v86
	v_mul_f32_e32 v136, 0xbf0a6770, v18
	v_add_f32_e32 v12, v15, v12
	v_add_f32_e32 v15, v63, v14
	v_fma_f32 v14, v87, s0, -v19
	s_mov_b32 s4, 0xbf27a4f4
	v_add_f32_e32 v11, v10, v11
	v_mov_b32_e32 v10, v136
	v_mul_f32_e32 v89, 0xbf68dda4, v89
	v_add_f32_e32 v14, v0, v14
	v_fma_f32 v16, v88, s1, -v90
	v_fmac_f32_e32 v10, 0x3f575c64, v87
	v_mov_b32_e32 v18, v89
	v_add_f32_e32 v14, v16, v14
	v_fma_f32 v16, v91, s4, -v93
	s_mov_b32 s12, 0xbe11bafb
	v_add_f32_e32 v10, v0, v10
	v_fmac_f32_e32 v18, 0x3ed4b147, v88
	v_mul_f32_e32 v92, 0xbf7d64f0, v92
	v_add_f32_e32 v14, v16, v14
	v_fma_f32 v16, v94, s5, -v96
	v_add_f32_e32 v10, v18, v10
	v_mov_b32_e32 v18, v92
	v_add_f32_e32 v14, v16, v14
	v_fma_f32 v16, v101, s12, -v104
	v_fmac_f32_e32 v105, 0xbf4178ce, v34
	v_fmac_f32_e32 v18, 0xbe11bafb, v91
	v_mul_f32_e32 v95, 0xbf4178ce, v95
	v_add_f32_e32 v14, v16, v14
	v_add_f32_e32 v16, v1, v105
	v_fmac_f32_e32 v106, 0x3f7d64f0, v30
	v_add_f32_e32 v10, v18, v10
	v_mov_b32_e32 v18, v95
	v_add_f32_e32 v16, v106, v16
	v_fmac_f32_e32 v107, 0xbf0a6770, v22
	v_fmac_f32_e32 v18, 0xbf27a4f4, v94
	v_mul_f32_e32 v102, 0xbe903f40, v102
	v_add_f32_e32 v16, v107, v16
	v_fmac_f32_e32 v108, 0xbe903f40, v26
	v_add_f32_e32 v10, v18, v10
	v_mov_b32_e32 v18, v102
	v_add_f32_e32 v16, v108, v16
	v_fmac_f32_e32 v109, 0x3f68dda4, v86
	v_fmac_f32_e32 v18, 0xbf75a155, v101
	v_add_f32_e32 v17, v109, v16
	v_fma_f32 v16, v87, s4, -v110
	v_add_f32_e32 v10, v18, v10
	v_add_f32_e32 v16, v0, v16
	v_fma_f32 v18, v88, s12, -v111
	v_add_f32_e32 v16, v18, v16
	v_fma_f32 v18, v91, s1, -v112
	;; [unrolled: 2-line block ×4, first 2 shown]
	v_fmac_f32_e32 v115, 0xbf7d64f0, v34
	v_add_f32_e32 v16, v18, v16
	v_add_f32_e32 v18, v1, v115
	v_fmac_f32_e32 v116, 0x3e903f40, v30
	v_add_f32_e32 v18, v116, v18
	v_fmac_f32_e32 v117, 0x3f68dda4, v22
	;; [unrolled: 2-line block ×4, first 2 shown]
	v_add_f32_e32 v19, v119, v18
	v_fma_f32 v18, v87, s12, -v120
	v_add_f32_e32 v18, v0, v18
	v_fma_f32 v20, v88, s0, -v121
	;; [unrolled: 2-line block ×5, first 2 shown]
	v_fmac_f32_e32 v125, 0xbf68dda4, v34
	v_add_f32_e32 v18, v20, v18
	v_add_f32_e32 v20, v1, v125
	v_fmac_f32_e32 v126, 0xbf4178ce, v30
	v_add_f32_e32 v20, v126, v20
	v_fmac_f32_e32 v127, 0x3e903f40, v22
	;; [unrolled: 2-line block ×4, first 2 shown]
	v_add_f32_e32 v21, v129, v20
	v_fma_f32 v20, v87, s5, -v130
	v_fmac_f32_e32 v33, 0xbf7d64f0, v22
	v_fma_f32 v22, v87, s1, -v136
	v_add_f32_e32 v20, v0, v20
	v_add_f32_e32 v0, v0, v22
	v_fma_f32 v22, v88, s5, -v89
	v_fmac_f32_e32 v56, 0xbf0a6770, v34
	v_add_f32_e32 v0, v22, v0
	v_fma_f32 v22, v91, s12, -v92
	v_fma_f32 v23, v88, s4, -v131
	v_add_f32_e32 v1, v1, v56
	v_fmac_f32_e32 v84, 0xbf68dda4, v30
	v_add_f32_e32 v0, v22, v0
	v_fma_f32 v22, v94, s4, -v95
	v_add_f32_e32 v20, v23, v20
	v_fma_f32 v23, v91, s0, -v132
	v_add_f32_e32 v1, v84, v1
	v_add_f32_e32 v0, v22, v0
	v_fma_f32 v22, v101, s0, -v102
	v_add_f32_e32 v20, v23, v20
	v_fma_f32 v23, v94, s12, -v133
	v_add_f32_e32 v1, v33, v1
	v_fmac_f32_e32 v59, 0xbf4178ce, v26
	v_add_f32_e32 v0, v22, v0
	v_mul_u32_u24_e32 v22, 0xa5, v99
	v_add_f32_e32 v12, v28, v12
	v_add_f32_e32 v20, v23, v20
	v_fma_f32 v23, v101, s1, -v134
	v_add_f32_e32 v1, v59, v1
	v_fmac_f32_e32 v135, 0xbe903f40, v86
	v_add_lshl_u32 v22, v22, v100, 3
	v_add_f32_e32 v20, v23, v20
	v_add_f32_e32 v1, v135, v1
	ds_write2_b64 v22, v[12:13], v[10:11] offset1:15
	ds_write2_b64 v22, v[8:9], v[6:7] offset0:30 offset1:45
	ds_write2_b64 v22, v[4:5], v[2:3] offset0:60 offset1:75
	;; [unrolled: 1-line block ×4, first 2 shown]
	ds_write_b64 v22, v[0:1] offset:1200
.LBB0_17:
	s_or_b64 exec, exec, s[2:3]
	v_add_u32_e32 v20, 0x800, v97
	s_waitcnt lgkmcnt(0)
	s_barrier
	ds_read2_b64 v[4:7], v20 offset0:74 offset1:239
	v_add_u32_e32 v21, 0x1e00, v97
	ds_read2_b64 v[8:11], v21 offset0:30 offset1:195
	v_add_u32_e32 v22, 0x1400, v97
	ds_read2_b64 v[0:3], v97 offset1:165
	ds_read2_b64 v[12:15], v22 offset0:20 offset1:185
	ds_read_b64 v[18:19], v97 offset:10560
	s_waitcnt lgkmcnt(4)
	v_mul_f32_e32 v23, v37, v7
	v_fmac_f32_e32 v23, v36, v6
	v_mul_f32_e32 v6, v37, v6
	v_fma_f32 v24, v36, v7, -v6
	s_waitcnt lgkmcnt(3)
	v_mul_f32_e32 v6, v39, v8
	v_mul_f32_e32 v25, v39, v9
	v_fma_f32 v9, v38, v9, -v6
	s_waitcnt lgkmcnt(1)
	v_mul_f32_e32 v6, v37, v12
	v_mul_f32_e32 v26, v37, v13
	v_fma_f32 v13, v36, v13, -v6
	v_mul_f32_e32 v6, v39, v10
	v_fmac_f32_e32 v25, v38, v8
	v_fma_f32 v28, v38, v11, -v6
	v_mul_f32_e32 v6, v41, v14
	v_fma_f32 v30, v40, v15, -v6
	s_waitcnt lgkmcnt(0)
	v_mul_f32_e32 v6, v43, v18
	v_add_f32_e32 v7, v23, v25
	v_mul_f32_e32 v31, v43, v19
	v_fma_f32 v19, v42, v19, -v6
	v_add_f32_e32 v6, v0, v23
	v_fma_f32 v0, -0.5, v7, v0
	v_sub_f32_e32 v7, v24, v9
	v_mov_b32_e32 v8, v0
	v_fmac_f32_e32 v8, 0xbf5db3d7, v7
	v_fmac_f32_e32 v0, 0x3f5db3d7, v7
	v_add_f32_e32 v7, v1, v24
	v_mul_f32_e32 v27, v39, v11
	v_add_f32_e32 v7, v7, v9
	v_add_f32_e32 v9, v24, v9
	v_fmac_f32_e32 v26, v36, v12
	v_fmac_f32_e32 v27, v38, v10
	v_fma_f32 v1, -0.5, v9, v1
	v_sub_f32_e32 v10, v23, v25
	v_mov_b32_e32 v9, v1
	v_add_f32_e32 v11, v26, v27
	v_fmac_f32_e32 v9, 0x3f5db3d7, v10
	v_fmac_f32_e32 v1, 0xbf5db3d7, v10
	v_add_f32_e32 v10, v2, v26
	v_fma_f32 v2, -0.5, v11, v2
	v_sub_f32_e32 v11, v13, v28
	v_mov_b32_e32 v12, v2
	v_mul_f32_e32 v29, v41, v15
	v_fmac_f32_e32 v12, 0xbf5db3d7, v11
	v_fmac_f32_e32 v2, 0x3f5db3d7, v11
	v_add_f32_e32 v11, v3, v13
	v_add_f32_e32 v13, v13, v28
	v_fmac_f32_e32 v29, v40, v14
	v_fmac_f32_e32 v31, v42, v18
	v_fmac_f32_e32 v3, -0.5, v13
	v_sub_f32_e32 v14, v26, v27
	v_mov_b32_e32 v13, v3
	v_add_f32_e32 v15, v29, v31
	v_fmac_f32_e32 v13, 0x3f5db3d7, v14
	v_fmac_f32_e32 v3, 0xbf5db3d7, v14
	v_add_f32_e32 v14, v4, v29
	v_fma_f32 v4, -0.5, v15, v4
	v_sub_f32_e32 v15, v30, v19
	v_mov_b32_e32 v18, v4
	v_fmac_f32_e32 v18, 0xbf5db3d7, v15
	v_fmac_f32_e32 v4, 0x3f5db3d7, v15
	v_add_f32_e32 v15, v5, v30
	v_add_f32_e32 v15, v15, v19
	v_add_f32_e32 v19, v30, v19
	v_fmac_f32_e32 v5, -0.5, v19
	v_add_f32_e32 v6, v6, v25
	v_sub_f32_e32 v23, v29, v31
	v_mov_b32_e32 v19, v5
	v_add_f32_e32 v10, v10, v27
	v_add_f32_e32 v11, v11, v28
	;; [unrolled: 1-line block ×3, first 2 shown]
	v_fmac_f32_e32 v19, 0x3f5db3d7, v23
	v_fmac_f32_e32 v5, 0xbf5db3d7, v23
	s_barrier
	ds_write2_b64 v97, v[6:7], v[8:9] offset1:165
	ds_write2_b64 v20, v[0:1], v[10:11] offset0:74 offset1:239
	ds_write2_b64 v22, v[12:13], v[2:3] offset0:20 offset1:185
	v_add_u32_e32 v0, 0x1e00, v103
	ds_write2_b64 v0, v[14:15], v[18:19] offset0:30 offset1:195
	ds_write_b64 v103, v[4:5] offset:10560
	s_waitcnt lgkmcnt(0)
	s_barrier
	ds_read2_b64 v[0:3], v20 offset0:74 offset1:239
	ds_read2_b64 v[4:7], v97 offset1:165
	ds_read2_b64 v[8:11], v21 offset0:30 offset1:195
	ds_read2_b64 v[12:15], v22 offset0:20 offset1:185
	ds_read_b64 v[18:19], v97 offset:10560
	s_waitcnt lgkmcnt(4)
	v_mul_f32_e32 v23, v45, v3
	v_fmac_f32_e32 v23, v44, v2
	v_mul_f32_e32 v2, v45, v2
	v_fma_f32 v24, v44, v3, -v2
	s_waitcnt lgkmcnt(2)
	v_mul_f32_e32 v2, v47, v8
	v_mul_f32_e32 v25, v47, v9
	v_fma_f32 v9, v46, v9, -v2
	s_waitcnt lgkmcnt(1)
	v_mul_f32_e32 v2, v49, v12
	v_mul_f32_e32 v26, v49, v13
	v_fma_f32 v13, v48, v13, -v2
	v_mul_f32_e32 v2, v51, v10
	v_fmac_f32_e32 v25, v46, v8
	v_fma_f32 v28, v50, v11, -v2
	v_mul_f32_e32 v2, v53, v14
	v_fma_f32 v30, v52, v15, -v2
	s_waitcnt lgkmcnt(0)
	v_mul_f32_e32 v2, v55, v18
	v_add_f32_e32 v3, v23, v25
	v_mul_f32_e32 v31, v55, v19
	v_fma_f32 v19, v54, v19, -v2
	v_add_f32_e32 v2, v4, v23
	v_fma_f32 v4, -0.5, v3, v4
	v_sub_f32_e32 v3, v24, v9
	v_mov_b32_e32 v8, v4
	v_fmac_f32_e32 v8, 0xbf5db3d7, v3
	v_fmac_f32_e32 v4, 0x3f5db3d7, v3
	v_add_f32_e32 v3, v5, v24
	v_mul_f32_e32 v27, v51, v11
	v_add_f32_e32 v3, v3, v9
	v_add_f32_e32 v9, v24, v9
	v_fmac_f32_e32 v26, v48, v12
	v_fmac_f32_e32 v27, v50, v10
	v_fma_f32 v5, -0.5, v9, v5
	v_sub_f32_e32 v10, v23, v25
	v_mov_b32_e32 v9, v5
	v_add_f32_e32 v11, v26, v27
	v_fmac_f32_e32 v9, 0x3f5db3d7, v10
	v_fmac_f32_e32 v5, 0xbf5db3d7, v10
	v_add_f32_e32 v10, v6, v26
	v_fma_f32 v6, -0.5, v11, v6
	v_sub_f32_e32 v11, v13, v28
	v_mov_b32_e32 v12, v6
	v_mul_f32_e32 v29, v53, v15
	v_fmac_f32_e32 v12, 0xbf5db3d7, v11
	v_fmac_f32_e32 v6, 0x3f5db3d7, v11
	v_add_f32_e32 v11, v7, v13
	v_add_f32_e32 v13, v13, v28
	v_fmac_f32_e32 v29, v52, v14
	v_fmac_f32_e32 v31, v54, v18
	v_fmac_f32_e32 v7, -0.5, v13
	v_sub_f32_e32 v14, v26, v27
	v_mov_b32_e32 v13, v7
	v_add_f32_e32 v15, v29, v31
	v_fmac_f32_e32 v13, 0x3f5db3d7, v14
	v_fmac_f32_e32 v7, 0xbf5db3d7, v14
	v_add_f32_e32 v14, v0, v29
	v_fma_f32 v0, -0.5, v15, v0
	v_sub_f32_e32 v15, v30, v19
	v_mov_b32_e32 v18, v0
	v_fmac_f32_e32 v18, 0xbf5db3d7, v15
	v_fmac_f32_e32 v0, 0x3f5db3d7, v15
	v_add_f32_e32 v15, v1, v30
	v_add_f32_e32 v15, v15, v19
	;; [unrolled: 1-line block ×3, first 2 shown]
	v_fmac_f32_e32 v1, -0.5, v19
	v_add_f32_e32 v2, v2, v25
	v_sub_f32_e32 v23, v29, v31
	v_mov_b32_e32 v19, v1
	v_mad_u64_u32 v[16:17], s[0:1], s10, v74, 0
	v_add_f32_e32 v10, v10, v27
	v_add_f32_e32 v11, v11, v28
	;; [unrolled: 1-line block ×3, first 2 shown]
	v_fmac_f32_e32 v19, 0x3f5db3d7, v23
	v_fmac_f32_e32 v1, 0xbf5db3d7, v23
	ds_write_b64 v97, v[8:9] offset:3960
	ds_write_b64 v97, v[4:5] offset:7920
	ds_write2_b64 v97, v[2:3], v[10:11] offset1:165
	ds_write_b64 v97, v[14:15] offset:2640
	ds_write2_b64 v22, v[12:13], v[18:19] offset0:20 offset1:185
	v_add_u32_e32 v2, 0x2400, v97
	ds_write2_b64 v2, v[6:7], v[0:1] offset0:3 offset1:168
	s_waitcnt lgkmcnt(0)
	s_barrier
	ds_read2_b64 v[0:3], v97 offset1:165
	v_mov_b32_e32 v4, v17
	v_mad_u64_u32 v[4:5], s[0:1], s11, v74, v[4:5]
	s_mov_b32 s0, 0xef473283
	s_waitcnt lgkmcnt(0)
	v_mul_f32_e32 v5, v82, v1
	v_fmac_f32_e32 v5, v81, v0
	v_cvt_f64_f32_e32 v[5:6], v5
	s_mov_b32 s1, 0x3f4610e4
	v_mad_u64_u32 v[8:9], s[2:3], s8, v98, 0
	v_mul_f64 v[5:6], v[5:6], s[0:1]
	v_mul_f32_e32 v0, v82, v0
	v_fma_f32 v0, v81, v1, -v0
	v_mov_b32_e32 v17, v4
	v_mov_b32_e32 v4, v9
	v_cvt_f64_f32_e32 v[0:1], v0
	v_mov_b32_e32 v14, s7
	s_mul_i32 s5, s8, 0xf78
	v_mad_u64_u32 v[9:10], s[2:3], s9, v98, v[4:5]
	v_cvt_f32_f64_e32 v10, v[5:6]
	ds_read2_b64 v[4:7], v20 offset0:74 offset1:239
	v_mul_f64 v[0:1], v[0:1], s[0:1]
	s_mul_i32 s2, s9, 0xf78
	s_mul_hi_u32 s3, s8, 0xf78
	s_add_i32 s4, s3, s2
	s_waitcnt lgkmcnt(0)
	v_mul_f32_e32 v12, v80, v7
	v_fmac_f32_e32 v12, v79, v6
	v_cvt_f64_f32_e32 v[12:13], v12
	v_mul_f32_e32 v6, v80, v6
	v_fma_f32 v6, v79, v7, -v6
	v_cvt_f64_f32_e32 v[6:7], v6
	v_cvt_f32_f64_e32 v11, v[0:1]
	v_lshlrev_b64 v[0:1], 3, v[16:17]
	v_mul_f64 v[12:13], v[12:13], s[0:1]
	v_add_co_u32_e32 v16, vcc, s6, v0
	v_addc_co_u32_e32 v17, vcc, v14, v1, vcc
	v_lshlrev_b64 v[0:1], 3, v[8:9]
	v_mul_f64 v[14:15], v[6:7], s[0:1]
	ds_read2_b64 v[6:9], v21 offset0:30 offset1:195
	v_add_co_u32_e32 v0, vcc, v16, v0
	v_addc_co_u32_e32 v1, vcc, v17, v1, vcc
	global_store_dwordx2 v[0:1], v[10:11], off
	v_cvt_f32_f64_e32 v10, v[12:13]
	s_waitcnt lgkmcnt(0)
	v_mul_f32_e32 v12, v78, v7
	v_fmac_f32_e32 v12, v77, v6
	v_mul_f32_e32 v6, v78, v6
	v_fma_f32 v6, v77, v7, -v6
	v_cvt_f64_f32_e32 v[6:7], v6
	v_cvt_f64_f32_e32 v[12:13], v12
	v_cvt_f32_f64_e32 v11, v[14:15]
	v_mov_b32_e32 v15, s4
	v_mul_f64 v[6:7], v[6:7], s[0:1]
	v_mul_f64 v[12:13], v[12:13], s[0:1]
	v_add_co_u32_e32 v14, vcc, s5, v0
	v_mul_f32_e32 v0, v76, v3
	v_addc_co_u32_e32 v15, vcc, v1, v15, vcc
	v_fmac_f32_e32 v0, v75, v2
	global_store_dwordx2 v[14:15], v[10:11], off
	v_cvt_f32_f64_e32 v11, v[6:7]
	v_cvt_f64_f32_e32 v[6:7], v0
	v_mul_f32_e32 v0, v76, v2
	v_fma_f32 v0, v75, v3, -v0
	v_cvt_f32_f64_e32 v10, v[12:13]
	v_cvt_f64_f32_e32 v[12:13], v0
	ds_read2_b64 v[0:3], v22 offset0:20 offset1:185
	v_mov_b32_e32 v16, s4
	v_add_co_u32_e32 v14, vcc, s5, v14
	v_addc_co_u32_e32 v15, vcc, v15, v16, vcc
	global_store_dwordx2 v[14:15], v[10:11], off
	v_mul_f64 v[10:11], v[12:13], s[0:1]
	s_waitcnt lgkmcnt(0)
	v_mul_f32_e32 v12, v71, v1
	v_fmac_f32_e32 v12, v70, v0
	v_mul_f32_e32 v0, v71, v0
	v_fma_f32 v0, v70, v1, -v0
	v_mul_f64 v[6:7], v[6:7], s[0:1]
	v_cvt_f64_f32_e32 v[0:1], v0
	v_cvt_f64_f32_e32 v[12:13], v12
	v_mov_b32_e32 v16, 0xffffe638
	v_mad_u64_u32 v[14:15], s[2:3], s8, v16, v[14:15]
	v_mul_f64 v[0:1], v[0:1], s[0:1]
	v_mul_f64 v[12:13], v[12:13], s[0:1]
	v_cvt_f32_f64_e32 v6, v[6:7]
	v_cvt_f32_f64_e32 v7, v[10:11]
	s_mul_i32 s2, s9, 0xffffe638
	s_sub_i32 s6, s2, s8
	v_add_u32_e32 v15, s6, v15
	global_store_dwordx2 v[14:15], v[6:7], off
	v_cvt_f32_f64_e32 v7, v[0:1]
	v_mul_f32_e32 v0, v73, v9
	v_fmac_f32_e32 v0, v72, v8
	v_mul_f32_e32 v8, v73, v8
	v_fma_f32 v8, v72, v9, -v8
	v_cvt_f32_f64_e32 v6, v[12:13]
	v_cvt_f64_f32_e32 v[0:1], v0
	v_cvt_f64_f32_e32 v[8:9], v8
	v_mov_b32_e32 v11, s4
	v_add_co_u32_e32 v10, vcc, s5, v14
	v_addc_co_u32_e32 v11, vcc, v15, v11, vcc
	global_store_dwordx2 v[10:11], v[6:7], off
	v_mul_f64 v[0:1], v[0:1], s[0:1]
	v_mul_f64 v[6:7], v[8:9], s[0:1]
	v_mul_f32_e32 v8, v69, v5
	v_fmac_f32_e32 v8, v68, v4
	v_cvt_f64_f32_e32 v[8:9], v8
	v_mul_f32_e32 v4, v69, v4
	v_fma_f32 v4, v68, v5, -v4
	v_cvt_f64_f32_e32 v[4:5], v4
	v_cvt_f32_f64_e32 v0, v[0:1]
	v_cvt_f32_f64_e32 v1, v[6:7]
	v_mul_f64 v[6:7], v[8:9], s[0:1]
	v_mul_f64 v[4:5], v[4:5], s[0:1]
	v_mov_b32_e32 v9, s4
	v_add_co_u32_e32 v8, vcc, s5, v10
	v_addc_co_u32_e32 v9, vcc, v11, v9, vcc
	global_store_dwordx2 v[8:9], v[0:1], off
	v_cvt_f32_f64_e32 v0, v[6:7]
	v_mul_f32_e32 v6, v67, v3
	v_fmac_f32_e32 v6, v66, v2
	v_mul_f32_e32 v2, v67, v2
	v_cvt_f32_f64_e32 v1, v[4:5]
	v_mad_u64_u32 v[4:5], s[2:3], s8, v16, v[8:9]
	v_fma_f32 v2, v66, v3, -v2
	v_cvt_f64_f32_e32 v[6:7], v6
	v_cvt_f64_f32_e32 v[2:3], v2
	ds_read_b64 v[8:9], v97 offset:10560
	v_add_u32_e32 v5, s6, v5
	global_store_dwordx2 v[4:5], v[0:1], off
	v_mul_f64 v[0:1], v[6:7], s[0:1]
	v_mul_f64 v[2:3], v[2:3], s[0:1]
	s_waitcnt lgkmcnt(0)
	v_mul_f32_e32 v6, v65, v9
	v_fmac_f32_e32 v6, v64, v8
	v_mul_f32_e32 v8, v65, v8
	v_fma_f32 v8, v64, v9, -v8
	v_cvt_f64_f32_e32 v[6:7], v6
	v_cvt_f64_f32_e32 v[8:9], v8
	v_cvt_f32_f64_e32 v0, v[0:1]
	v_cvt_f32_f64_e32 v1, v[2:3]
	v_mul_f64 v[2:3], v[6:7], s[0:1]
	v_mul_f64 v[6:7], v[8:9], s[0:1]
	v_mov_b32_e32 v8, s4
	v_add_co_u32_e32 v4, vcc, s5, v4
	v_addc_co_u32_e32 v5, vcc, v5, v8, vcc
	global_store_dwordx2 v[4:5], v[0:1], off
	v_cvt_f32_f64_e32 v0, v[2:3]
	v_cvt_f32_f64_e32 v1, v[6:7]
	v_mov_b32_e32 v3, s4
	v_add_co_u32_e32 v2, vcc, s5, v4
	v_addc_co_u32_e32 v3, vcc, v5, v3, vcc
	global_store_dwordx2 v[2:3], v[0:1], off
.LBB0_18:
	s_endpgm
	.section	.rodata,"a",@progbits
	.p2align	6, 0x0
	.amdhsa_kernel bluestein_single_back_len1485_dim1_sp_op_CI_CI
		.amdhsa_group_segment_fixed_size 11880
		.amdhsa_private_segment_fixed_size 0
		.amdhsa_kernarg_size 104
		.amdhsa_user_sgpr_count 6
		.amdhsa_user_sgpr_private_segment_buffer 1
		.amdhsa_user_sgpr_dispatch_ptr 0
		.amdhsa_user_sgpr_queue_ptr 0
		.amdhsa_user_sgpr_kernarg_segment_ptr 1
		.amdhsa_user_sgpr_dispatch_id 0
		.amdhsa_user_sgpr_flat_scratch_init 0
		.amdhsa_user_sgpr_private_segment_size 0
		.amdhsa_uses_dynamic_stack 0
		.amdhsa_system_sgpr_private_segment_wavefront_offset 0
		.amdhsa_system_sgpr_workgroup_id_x 1
		.amdhsa_system_sgpr_workgroup_id_y 0
		.amdhsa_system_sgpr_workgroup_id_z 0
		.amdhsa_system_sgpr_workgroup_info 0
		.amdhsa_system_vgpr_workitem_id 0
		.amdhsa_next_free_vgpr 180
		.amdhsa_next_free_sgpr 20
		.amdhsa_reserve_vcc 1
		.amdhsa_reserve_flat_scratch 0
		.amdhsa_float_round_mode_32 0
		.amdhsa_float_round_mode_16_64 0
		.amdhsa_float_denorm_mode_32 3
		.amdhsa_float_denorm_mode_16_64 3
		.amdhsa_dx10_clamp 1
		.amdhsa_ieee_mode 1
		.amdhsa_fp16_overflow 0
		.amdhsa_exception_fp_ieee_invalid_op 0
		.amdhsa_exception_fp_denorm_src 0
		.amdhsa_exception_fp_ieee_div_zero 0
		.amdhsa_exception_fp_ieee_overflow 0
		.amdhsa_exception_fp_ieee_underflow 0
		.amdhsa_exception_fp_ieee_inexact 0
		.amdhsa_exception_int_div_zero 0
	.end_amdhsa_kernel
	.text
.Lfunc_end0:
	.size	bluestein_single_back_len1485_dim1_sp_op_CI_CI, .Lfunc_end0-bluestein_single_back_len1485_dim1_sp_op_CI_CI
                                        ; -- End function
	.section	.AMDGPU.csdata,"",@progbits
; Kernel info:
; codeLenInByte = 12120
; NumSgprs: 24
; NumVgprs: 180
; ScratchSize: 0
; MemoryBound: 0
; FloatMode: 240
; IeeeMode: 1
; LDSByteSize: 11880 bytes/workgroup (compile time only)
; SGPRBlocks: 2
; VGPRBlocks: 44
; NumSGPRsForWavesPerEU: 24
; NumVGPRsForWavesPerEU: 180
; Occupancy: 1
; WaveLimiterHint : 1
; COMPUTE_PGM_RSRC2:SCRATCH_EN: 0
; COMPUTE_PGM_RSRC2:USER_SGPR: 6
; COMPUTE_PGM_RSRC2:TRAP_HANDLER: 0
; COMPUTE_PGM_RSRC2:TGID_X_EN: 1
; COMPUTE_PGM_RSRC2:TGID_Y_EN: 0
; COMPUTE_PGM_RSRC2:TGID_Z_EN: 0
; COMPUTE_PGM_RSRC2:TIDIG_COMP_CNT: 0
	.type	__hip_cuid_c94d40a302386c11,@object ; @__hip_cuid_c94d40a302386c11
	.section	.bss,"aw",@nobits
	.globl	__hip_cuid_c94d40a302386c11
__hip_cuid_c94d40a302386c11:
	.byte	0                               ; 0x0
	.size	__hip_cuid_c94d40a302386c11, 1

	.ident	"AMD clang version 19.0.0git (https://github.com/RadeonOpenCompute/llvm-project roc-6.4.0 25133 c7fe45cf4b819c5991fe208aaa96edf142730f1d)"
	.section	".note.GNU-stack","",@progbits
	.addrsig
	.addrsig_sym __hip_cuid_c94d40a302386c11
	.amdgpu_metadata
---
amdhsa.kernels:
  - .args:
      - .actual_access:  read_only
        .address_space:  global
        .offset:         0
        .size:           8
        .value_kind:     global_buffer
      - .actual_access:  read_only
        .address_space:  global
        .offset:         8
        .size:           8
        .value_kind:     global_buffer
      - .actual_access:  read_only
        .address_space:  global
        .offset:         16
        .size:           8
        .value_kind:     global_buffer
      - .actual_access:  read_only
        .address_space:  global
        .offset:         24
        .size:           8
        .value_kind:     global_buffer
      - .actual_access:  read_only
        .address_space:  global
        .offset:         32
        .size:           8
        .value_kind:     global_buffer
      - .offset:         40
        .size:           8
        .value_kind:     by_value
      - .address_space:  global
        .offset:         48
        .size:           8
        .value_kind:     global_buffer
      - .address_space:  global
        .offset:         56
        .size:           8
        .value_kind:     global_buffer
      - .address_space:  global
        .offset:         64
        .size:           8
        .value_kind:     global_buffer
      - .address_space:  global
        .offset:         72
        .size:           8
        .value_kind:     global_buffer
      - .offset:         80
        .size:           4
        .value_kind:     by_value
      - .address_space:  global
        .offset:         88
        .size:           8
        .value_kind:     global_buffer
      - .address_space:  global
        .offset:         96
        .size:           8
        .value_kind:     global_buffer
    .group_segment_fixed_size: 11880
    .kernarg_segment_align: 8
    .kernarg_segment_size: 104
    .language:       OpenCL C
    .language_version:
      - 2
      - 0
    .max_flat_workgroup_size: 165
    .name:           bluestein_single_back_len1485_dim1_sp_op_CI_CI
    .private_segment_fixed_size: 0
    .sgpr_count:     24
    .sgpr_spill_count: 0
    .symbol:         bluestein_single_back_len1485_dim1_sp_op_CI_CI.kd
    .uniform_work_group_size: 1
    .uses_dynamic_stack: false
    .vgpr_count:     180
    .vgpr_spill_count: 0
    .wavefront_size: 64
amdhsa.target:   amdgcn-amd-amdhsa--gfx906
amdhsa.version:
  - 1
  - 2
...

	.end_amdgpu_metadata
